;; amdgpu-corpus repo=ROCm/rocFFT kind=compiled arch=gfx1201 opt=O3
	.text
	.amdgcn_target "amdgcn-amd-amdhsa--gfx1201"
	.amdhsa_code_object_version 6
	.protected	fft_rtc_back_len1352_factors_2_13_13_4_wgs_52_tpt_52_halfLds_sp_op_CI_CI_unitstride_sbrr_dirReg ; -- Begin function fft_rtc_back_len1352_factors_2_13_13_4_wgs_52_tpt_52_halfLds_sp_op_CI_CI_unitstride_sbrr_dirReg
	.globl	fft_rtc_back_len1352_factors_2_13_13_4_wgs_52_tpt_52_halfLds_sp_op_CI_CI_unitstride_sbrr_dirReg
	.p2align	8
	.type	fft_rtc_back_len1352_factors_2_13_13_4_wgs_52_tpt_52_halfLds_sp_op_CI_CI_unitstride_sbrr_dirReg,@function
fft_rtc_back_len1352_factors_2_13_13_4_wgs_52_tpt_52_halfLds_sp_op_CI_CI_unitstride_sbrr_dirReg: ; @fft_rtc_back_len1352_factors_2_13_13_4_wgs_52_tpt_52_halfLds_sp_op_CI_CI_unitstride_sbrr_dirReg
; %bb.0:
	s_clause 0x2
	s_load_b128 s[4:7], s[0:1], 0x0
	s_load_b128 s[8:11], s[0:1], 0x58
	;; [unrolled: 1-line block ×3, first 2 shown]
	v_mul_u32_u24_e32 v1, 0x4ed, v0
	v_mov_b32_e32 v3, 0
	s_delay_alu instid0(VALU_DEP_2) | instskip(NEXT) | instid1(VALU_DEP_1)
	v_lshrrev_b32_e32 v1, 16, v1
	v_add_nc_u32_e32 v5, ttmp9, v1
	v_mov_b32_e32 v1, 0
	v_mov_b32_e32 v2, 0
	;; [unrolled: 1-line block ×3, first 2 shown]
	s_wait_kmcnt 0x0
	v_cmp_lt_u64_e64 s2, s[6:7], 2
	s_delay_alu instid0(VALU_DEP_1)
	s_and_b32 vcc_lo, exec_lo, s2
	s_cbranch_vccnz .LBB0_8
; %bb.1:
	s_load_b64 s[2:3], s[0:1], 0x10
	v_mov_b32_e32 v1, 0
	v_mov_b32_e32 v2, 0
	s_add_nc_u64 s[16:17], s[14:15], 8
	s_add_nc_u64 s[18:19], s[12:13], 8
	s_mov_b64 s[20:21], 1
	s_delay_alu instid0(VALU_DEP_1)
	v_dual_mov_b32 v25, v2 :: v_dual_mov_b32 v24, v1
	s_wait_kmcnt 0x0
	s_add_nc_u64 s[22:23], s[2:3], 8
	s_mov_b32 s3, 0
.LBB0_2:                                ; =>This Inner Loop Header: Depth=1
	s_load_b64 s[24:25], s[22:23], 0x0
                                        ; implicit-def: $vgpr26_vgpr27
	s_mov_b32 s2, exec_lo
	s_wait_kmcnt 0x0
	v_or_b32_e32 v4, s25, v6
	s_delay_alu instid0(VALU_DEP_1)
	v_cmpx_ne_u64_e32 0, v[3:4]
	s_wait_alu 0xfffe
	s_xor_b32 s26, exec_lo, s2
	s_cbranch_execz .LBB0_4
; %bb.3:                                ;   in Loop: Header=BB0_2 Depth=1
	s_cvt_f32_u32 s2, s24
	s_cvt_f32_u32 s27, s25
	s_sub_nc_u64 s[30:31], 0, s[24:25]
	s_wait_alu 0xfffe
	s_delay_alu instid0(SALU_CYCLE_1) | instskip(SKIP_1) | instid1(SALU_CYCLE_2)
	s_fmamk_f32 s2, s27, 0x4f800000, s2
	s_wait_alu 0xfffe
	v_s_rcp_f32 s2, s2
	s_delay_alu instid0(TRANS32_DEP_1) | instskip(SKIP_1) | instid1(SALU_CYCLE_2)
	s_mul_f32 s2, s2, 0x5f7ffffc
	s_wait_alu 0xfffe
	s_mul_f32 s27, s2, 0x2f800000
	s_wait_alu 0xfffe
	s_delay_alu instid0(SALU_CYCLE_2) | instskip(SKIP_1) | instid1(SALU_CYCLE_2)
	s_trunc_f32 s27, s27
	s_wait_alu 0xfffe
	s_fmamk_f32 s2, s27, 0xcf800000, s2
	s_cvt_u32_f32 s29, s27
	s_wait_alu 0xfffe
	s_delay_alu instid0(SALU_CYCLE_1) | instskip(SKIP_1) | instid1(SALU_CYCLE_2)
	s_cvt_u32_f32 s28, s2
	s_wait_alu 0xfffe
	s_mul_u64 s[34:35], s[30:31], s[28:29]
	s_wait_alu 0xfffe
	s_mul_hi_u32 s37, s28, s35
	s_mul_i32 s36, s28, s35
	s_mul_hi_u32 s2, s28, s34
	s_mul_i32 s33, s29, s34
	s_wait_alu 0xfffe
	s_add_nc_u64 s[36:37], s[2:3], s[36:37]
	s_mul_hi_u32 s27, s29, s34
	s_mul_hi_u32 s38, s29, s35
	s_add_co_u32 s2, s36, s33
	s_wait_alu 0xfffe
	s_add_co_ci_u32 s2, s37, s27
	s_mul_i32 s34, s29, s35
	s_add_co_ci_u32 s35, s38, 0
	s_wait_alu 0xfffe
	s_add_nc_u64 s[34:35], s[2:3], s[34:35]
	s_wait_alu 0xfffe
	v_add_co_u32 v4, s2, s28, s34
	s_delay_alu instid0(VALU_DEP_1) | instskip(SKIP_1) | instid1(VALU_DEP_1)
	s_cmp_lg_u32 s2, 0
	s_add_co_ci_u32 s29, s29, s35
	v_readfirstlane_b32 s28, v4
	s_wait_alu 0xfffe
	s_delay_alu instid0(VALU_DEP_1)
	s_mul_u64 s[30:31], s[30:31], s[28:29]
	s_wait_alu 0xfffe
	s_mul_hi_u32 s35, s28, s31
	s_mul_i32 s34, s28, s31
	s_mul_hi_u32 s2, s28, s30
	s_mul_i32 s33, s29, s30
	s_wait_alu 0xfffe
	s_add_nc_u64 s[34:35], s[2:3], s[34:35]
	s_mul_hi_u32 s27, s29, s30
	s_mul_hi_u32 s28, s29, s31
	s_wait_alu 0xfffe
	s_add_co_u32 s2, s34, s33
	s_add_co_ci_u32 s2, s35, s27
	s_mul_i32 s30, s29, s31
	s_add_co_ci_u32 s31, s28, 0
	s_wait_alu 0xfffe
	s_add_nc_u64 s[30:31], s[2:3], s[30:31]
	s_wait_alu 0xfffe
	v_add_co_u32 v4, s2, v4, s30
	s_delay_alu instid0(VALU_DEP_1) | instskip(SKIP_1) | instid1(VALU_DEP_1)
	s_cmp_lg_u32 s2, 0
	s_add_co_ci_u32 s2, s29, s31
	v_mul_hi_u32 v13, v5, v4
	s_wait_alu 0xfffe
	v_mad_co_u64_u32 v[7:8], null, v5, s2, 0
	v_mad_co_u64_u32 v[9:10], null, v6, v4, 0
	;; [unrolled: 1-line block ×3, first 2 shown]
	s_delay_alu instid0(VALU_DEP_3) | instskip(SKIP_1) | instid1(VALU_DEP_4)
	v_add_co_u32 v4, vcc_lo, v13, v7
	s_wait_alu 0xfffd
	v_add_co_ci_u32_e32 v7, vcc_lo, 0, v8, vcc_lo
	s_delay_alu instid0(VALU_DEP_2) | instskip(SKIP_1) | instid1(VALU_DEP_2)
	v_add_co_u32 v4, vcc_lo, v4, v9
	s_wait_alu 0xfffd
	v_add_co_ci_u32_e32 v4, vcc_lo, v7, v10, vcc_lo
	s_wait_alu 0xfffd
	v_add_co_ci_u32_e32 v7, vcc_lo, 0, v12, vcc_lo
	s_delay_alu instid0(VALU_DEP_2) | instskip(SKIP_1) | instid1(VALU_DEP_2)
	v_add_co_u32 v4, vcc_lo, v4, v11
	s_wait_alu 0xfffd
	v_add_co_ci_u32_e32 v9, vcc_lo, 0, v7, vcc_lo
	s_delay_alu instid0(VALU_DEP_2) | instskip(SKIP_1) | instid1(VALU_DEP_3)
	v_mul_lo_u32 v10, s25, v4
	v_mad_co_u64_u32 v[7:8], null, s24, v4, 0
	v_mul_lo_u32 v11, s24, v9
	s_delay_alu instid0(VALU_DEP_2) | instskip(NEXT) | instid1(VALU_DEP_2)
	v_sub_co_u32 v7, vcc_lo, v5, v7
	v_add3_u32 v8, v8, v11, v10
	s_delay_alu instid0(VALU_DEP_1) | instskip(SKIP_1) | instid1(VALU_DEP_1)
	v_sub_nc_u32_e32 v10, v6, v8
	s_wait_alu 0xfffd
	v_subrev_co_ci_u32_e64 v10, s2, s25, v10, vcc_lo
	v_add_co_u32 v11, s2, v4, 2
	s_wait_alu 0xf1ff
	v_add_co_ci_u32_e64 v12, s2, 0, v9, s2
	v_sub_co_u32 v13, s2, v7, s24
	v_sub_co_ci_u32_e32 v8, vcc_lo, v6, v8, vcc_lo
	s_wait_alu 0xf1ff
	v_subrev_co_ci_u32_e64 v10, s2, 0, v10, s2
	s_delay_alu instid0(VALU_DEP_3) | instskip(NEXT) | instid1(VALU_DEP_3)
	v_cmp_le_u32_e32 vcc_lo, s24, v13
	v_cmp_eq_u32_e64 s2, s25, v8
	s_wait_alu 0xfffd
	v_cndmask_b32_e64 v13, 0, -1, vcc_lo
	v_cmp_le_u32_e32 vcc_lo, s25, v10
	s_wait_alu 0xfffd
	v_cndmask_b32_e64 v14, 0, -1, vcc_lo
	v_cmp_le_u32_e32 vcc_lo, s24, v7
	;; [unrolled: 3-line block ×3, first 2 shown]
	s_wait_alu 0xfffd
	v_cndmask_b32_e64 v15, 0, -1, vcc_lo
	v_cmp_eq_u32_e32 vcc_lo, s25, v10
	s_wait_alu 0xf1ff
	s_delay_alu instid0(VALU_DEP_2)
	v_cndmask_b32_e64 v7, v15, v7, s2
	s_wait_alu 0xfffd
	v_cndmask_b32_e32 v10, v14, v13, vcc_lo
	v_add_co_u32 v13, vcc_lo, v4, 1
	s_wait_alu 0xfffd
	v_add_co_ci_u32_e32 v14, vcc_lo, 0, v9, vcc_lo
	s_delay_alu instid0(VALU_DEP_3) | instskip(SKIP_1) | instid1(VALU_DEP_2)
	v_cmp_ne_u32_e32 vcc_lo, 0, v10
	s_wait_alu 0xfffd
	v_cndmask_b32_e32 v8, v14, v12, vcc_lo
	v_cndmask_b32_e32 v10, v13, v11, vcc_lo
	v_cmp_ne_u32_e32 vcc_lo, 0, v7
	s_wait_alu 0xfffd
	s_delay_alu instid0(VALU_DEP_2)
	v_dual_cndmask_b32 v27, v9, v8 :: v_dual_cndmask_b32 v26, v4, v10
.LBB0_4:                                ;   in Loop: Header=BB0_2 Depth=1
	s_wait_alu 0xfffe
	s_and_not1_saveexec_b32 s2, s26
	s_cbranch_execz .LBB0_6
; %bb.5:                                ;   in Loop: Header=BB0_2 Depth=1
	v_cvt_f32_u32_e32 v4, s24
	s_sub_co_i32 s26, 0, s24
	v_mov_b32_e32 v27, v3
	s_delay_alu instid0(VALU_DEP_2) | instskip(NEXT) | instid1(TRANS32_DEP_1)
	v_rcp_iflag_f32_e32 v4, v4
	v_mul_f32_e32 v4, 0x4f7ffffe, v4
	s_delay_alu instid0(VALU_DEP_1) | instskip(SKIP_1) | instid1(VALU_DEP_1)
	v_cvt_u32_f32_e32 v4, v4
	s_wait_alu 0xfffe
	v_mul_lo_u32 v7, s26, v4
	s_delay_alu instid0(VALU_DEP_1) | instskip(NEXT) | instid1(VALU_DEP_1)
	v_mul_hi_u32 v7, v4, v7
	v_add_nc_u32_e32 v4, v4, v7
	s_delay_alu instid0(VALU_DEP_1) | instskip(NEXT) | instid1(VALU_DEP_1)
	v_mul_hi_u32 v4, v5, v4
	v_mul_lo_u32 v7, v4, s24
	v_add_nc_u32_e32 v8, 1, v4
	s_delay_alu instid0(VALU_DEP_2) | instskip(NEXT) | instid1(VALU_DEP_1)
	v_sub_nc_u32_e32 v7, v5, v7
	v_subrev_nc_u32_e32 v9, s24, v7
	v_cmp_le_u32_e32 vcc_lo, s24, v7
	s_wait_alu 0xfffd
	s_delay_alu instid0(VALU_DEP_2) | instskip(NEXT) | instid1(VALU_DEP_1)
	v_dual_cndmask_b32 v7, v7, v9 :: v_dual_cndmask_b32 v4, v4, v8
	v_cmp_le_u32_e32 vcc_lo, s24, v7
	s_delay_alu instid0(VALU_DEP_2) | instskip(SKIP_1) | instid1(VALU_DEP_1)
	v_add_nc_u32_e32 v8, 1, v4
	s_wait_alu 0xfffd
	v_cndmask_b32_e32 v26, v4, v8, vcc_lo
.LBB0_6:                                ;   in Loop: Header=BB0_2 Depth=1
	s_wait_alu 0xfffe
	s_or_b32 exec_lo, exec_lo, s2
	v_mul_lo_u32 v4, v27, s24
	s_delay_alu instid0(VALU_DEP_2)
	v_mul_lo_u32 v9, v26, s25
	s_load_b64 s[26:27], s[18:19], 0x0
	v_mad_co_u64_u32 v[7:8], null, v26, s24, 0
	s_load_b64 s[24:25], s[16:17], 0x0
	s_add_nc_u64 s[20:21], s[20:21], 1
	s_add_nc_u64 s[16:17], s[16:17], 8
	s_wait_alu 0xfffe
	v_cmp_ge_u64_e64 s2, s[20:21], s[6:7]
	s_add_nc_u64 s[18:19], s[18:19], 8
	s_add_nc_u64 s[22:23], s[22:23], 8
	v_add3_u32 v4, v8, v9, v4
	v_sub_co_u32 v5, vcc_lo, v5, v7
	s_wait_alu 0xfffd
	s_delay_alu instid0(VALU_DEP_2) | instskip(SKIP_2) | instid1(VALU_DEP_1)
	v_sub_co_ci_u32_e32 v4, vcc_lo, v6, v4, vcc_lo
	s_and_b32 vcc_lo, exec_lo, s2
	s_wait_kmcnt 0x0
	v_mul_lo_u32 v6, s26, v4
	v_mul_lo_u32 v7, s27, v5
	v_mad_co_u64_u32 v[1:2], null, s26, v5, v[1:2]
	v_mul_lo_u32 v4, s24, v4
	v_mul_lo_u32 v8, s25, v5
	v_mad_co_u64_u32 v[24:25], null, s24, v5, v[24:25]
	s_delay_alu instid0(VALU_DEP_4) | instskip(NEXT) | instid1(VALU_DEP_2)
	v_add3_u32 v2, v7, v2, v6
	v_add3_u32 v25, v8, v25, v4
	s_wait_alu 0xfffe
	s_cbranch_vccnz .LBB0_9
; %bb.7:                                ;   in Loop: Header=BB0_2 Depth=1
	v_dual_mov_b32 v5, v26 :: v_dual_mov_b32 v6, v27
	s_branch .LBB0_2
.LBB0_8:
	v_dual_mov_b32 v25, v2 :: v_dual_mov_b32 v24, v1
	v_dual_mov_b32 v27, v6 :: v_dual_mov_b32 v26, v5
.LBB0_9:
	s_load_b64 s[0:1], s[0:1], 0x28
	v_mul_hi_u32 v23, 0x4ec4ec5, v0
	s_lshl_b64 s[6:7], s[6:7], 3
                                        ; implicit-def: $sgpr2_sgpr3
                                        ; implicit-def: $vgpr90
	s_wait_kmcnt 0x0
	v_cmp_gt_u64_e32 vcc_lo, s[0:1], v[26:27]
	v_cmp_le_u64_e64 s0, s[0:1], v[26:27]
	s_delay_alu instid0(VALU_DEP_1)
	s_and_saveexec_b32 s1, s0
	s_wait_alu 0xfffe
	s_xor_b32 s0, exec_lo, s1
; %bb.10:
	v_mul_u32_u24_e32 v1, 52, v23
	s_mov_b64 s[2:3], 0
                                        ; implicit-def: $vgpr23
	s_delay_alu instid0(VALU_DEP_1)
	v_sub_nc_u32_e32 v90, v0, v1
                                        ; implicit-def: $vgpr0
                                        ; implicit-def: $vgpr1_vgpr2
; %bb.11:
	s_wait_alu 0xfffe
	s_or_saveexec_b32 s1, s0
	v_dual_mov_b32 v4, s3 :: v_dual_mov_b32 v3, s2
	v_dual_mov_b32 v22, s3 :: v_dual_mov_b32 v21, s2
	;; [unrolled: 1-line block ×13, first 2 shown]
	s_add_nc_u64 s[2:3], s[14:15], s[6:7]
                                        ; implicit-def: $vgpr59
                                        ; implicit-def: $vgpr49
                                        ; implicit-def: $vgpr39
                                        ; implicit-def: $vgpr51
                                        ; implicit-def: $vgpr37
                                        ; implicit-def: $vgpr41
                                        ; implicit-def: $vgpr43
                                        ; implicit-def: $vgpr45
                                        ; implicit-def: $vgpr35
                                        ; implicit-def: $vgpr47
                                        ; implicit-def: $vgpr55
                                        ; implicit-def: $vgpr53
                                        ; implicit-def: $vgpr57
	s_wait_alu 0xfffe
	s_xor_b32 exec_lo, exec_lo, s1
	s_cbranch_execz .LBB0_13
; %bb.12:
	s_add_nc_u64 s[6:7], s[12:13], s[6:7]
	v_lshlrev_b64_e32 v[1:2], 3, v[1:2]
	s_load_b64 s[6:7], s[6:7], 0x0
	s_wait_kmcnt 0x0
	v_mul_lo_u32 v5, s7, v26
	v_mul_lo_u32 v6, s6, v27
	v_mad_co_u64_u32 v[3:4], null, s6, v26, 0
	s_delay_alu instid0(VALU_DEP_1) | instskip(SKIP_1) | instid1(VALU_DEP_2)
	v_add3_u32 v4, v4, v6, v5
	v_mul_u32_u24_e32 v5, 52, v23
	v_lshlrev_b64_e32 v[3:4], 3, v[3:4]
	s_delay_alu instid0(VALU_DEP_2) | instskip(NEXT) | instid1(VALU_DEP_2)
	v_sub_nc_u32_e32 v90, v0, v5
	v_add_co_u32 v0, s0, s8, v3
	s_wait_alu 0xf1ff
	s_delay_alu instid0(VALU_DEP_3) | instskip(NEXT) | instid1(VALU_DEP_3)
	v_add_co_ci_u32_e64 v3, s0, s9, v4, s0
	v_lshlrev_b32_e32 v4, 3, v90
	s_delay_alu instid0(VALU_DEP_3) | instskip(SKIP_1) | instid1(VALU_DEP_3)
	v_add_co_u32 v0, s0, v0, v1
	s_wait_alu 0xf1ff
	v_add_co_ci_u32_e64 v1, s0, v3, v2, s0
	s_delay_alu instid0(VALU_DEP_2) | instskip(SKIP_1) | instid1(VALU_DEP_2)
	v_add_co_u32 v0, s0, v0, v4
	s_wait_alu 0xf1ff
	v_add_co_ci_u32_e64 v1, s0, 0, v1, s0
	s_clause 0x19
	global_load_b64 v[48:49], v[0:1], off offset:5824
	global_load_b64 v[38:39], v[0:1], off offset:6240
	global_load_b64 v[3:4], v[0:1], off
	global_load_b64 v[21:22], v[0:1], off offset:416
	global_load_b64 v[17:18], v[0:1], off offset:832
	global_load_b64 v[11:12], v[0:1], off offset:1248
	global_load_b64 v[56:57], v[0:1], off offset:6656
	global_load_b64 v[50:51], v[0:1], off offset:7072
	global_load_b64 v[52:53], v[0:1], off offset:7488
	global_load_b64 v[36:37], v[0:1], off offset:7904
	global_load_b64 v[32:33], v[0:1], off offset:1664
	global_load_b64 v[19:20], v[0:1], off offset:2080
	global_load_b64 v[15:16], v[0:1], off offset:2496
	global_load_b64 v[13:14], v[0:1], off offset:2912
	global_load_b64 v[40:41], v[0:1], off offset:8320
	global_load_b64 v[42:43], v[0:1], off offset:8736
	global_load_b64 v[44:45], v[0:1], off offset:9152
	global_load_b64 v[34:35], v[0:1], off offset:9568
	global_load_b64 v[30:31], v[0:1], off offset:3328
	global_load_b64 v[28:29], v[0:1], off offset:3744
	global_load_b64 v[7:8], v[0:1], off offset:4160
	global_load_b64 v[9:10], v[0:1], off offset:4576
	global_load_b64 v[58:59], v[0:1], off offset:5408
	global_load_b64 v[5:6], v[0:1], off offset:4992
	global_load_b64 v[54:55], v[0:1], off offset:9984
	global_load_b64 v[46:47], v[0:1], off offset:10400
.LBB0_13:
	s_or_b32 exec_lo, exec_lo, s1
	s_wait_loadcnt 0x3
	v_sub_f32_e32 v1, v3, v58
	v_sub_f32_e32 v49, v22, v49
	v_sub_f32_e32 v39, v18, v39
	v_sub_f32_e32 v63, v12, v57
	v_dual_sub_f32 v51, v33, v51 :: v_dual_add_nc_u32 v78, 0x104, v90
	v_sub_f32_e32 v53, v20, v53
	v_sub_f32_e32 v59, v4, v59
	;; [unrolled: 1-line block ×3, first 2 shown]
	v_fma_f32 v62, v12, 2.0, -v63
	v_sub_f32_e32 v12, v19, v52
	v_fma_f32 v48, v22, 2.0, -v49
	v_sub_f32_e32 v22, v11, v56
	v_lshl_add_u32 v73, v90, 3, 0
	v_add_nc_u32_e32 v56, 0x138, v90
	v_fma_f32 v52, v20, 2.0, -v53
	v_sub_f32_e32 v20, v28, v44
	v_fma_f32 v0, v3, 2.0, -v1
	v_dual_sub_f32 v3, v17, v38 :: v_dual_add_nc_u32 v80, 0x1000, v73
	v_fma_f32 v38, v18, 2.0, -v39
	v_sub_f32_e32 v18, v32, v50
	v_fma_f32 v50, v33, 2.0, -v51
	v_lshl_add_u32 v57, v90, 2, 0
	v_sub_f32_e32 v33, v15, v36
	v_fma_f32 v2, v17, 2.0, -v3
	v_fma_f32 v17, v32, 2.0, -v18
	v_sub_f32_e32 v41, v14, v41
	v_sub_f32_e32 v65, v13, v40
	v_fma_f32 v32, v15, 2.0, -v33
	v_dual_sub_f32 v15, v30, v42 :: v_dual_add_nc_u32 v72, 0x800, v57
	s_delay_alu instid0(VALU_DEP_4) | instskip(SKIP_2) | instid1(VALU_DEP_4)
	v_fma_f32 v40, v14, 2.0, -v41
	v_fma_f32 v60, v21, 2.0, -v61
	;; [unrolled: 1-line block ×4, first 2 shown]
	v_sub_f32_e32 v30, v7, v34
	v_dual_sub_f32 v45, v29, v45 :: v_dual_add_nc_u32 v34, 52, v90
	s_wait_loadcnt 0x0
	v_sub_f32_e32 v71, v5, v46
	v_sub_f32_e32 v69, v9, v54
	s_load_b64 s[2:3], s[2:3], 0x0
	v_lshl_add_u32 v76, v34, 3, 0
	v_fma_f32 v11, v19, 2.0, -v12
	ds_store_2addr_b64 v73, v[0:1], v[2:3] offset1:104
	ds_store_2addr_b64 v73, v[21:22], v[17:18] offset0:156 offset1:208
	v_lshl_add_u32 v2, v78, 3, 0
	v_lshl_add_u32 v3, v56, 3, 0
	v_fma_f32 v64, v13, 2.0, -v65
	v_add_nc_u32_e32 v77, 0x800, v73
	v_fma_f32 v19, v28, 2.0, -v20
	v_fma_f32 v44, v29, 2.0, -v45
	;; [unrolled: 1-line block ×4, first 2 shown]
	v_add_nc_u32_e32 v79, 0xc00, v73
	v_dual_sub_f32 v43, v31, v43 :: v_dual_add_nc_u32 v74, 0xc00, v57
	v_fma_f32 v68, v9, 2.0, -v69
	ds_store_b64 v76, v[60:61]
	ds_store_b64 v2, v[11:12]
	;; [unrolled: 1-line block ×3, first 2 shown]
	ds_store_2addr_b64 v77, v[64:65], v[14:15] offset0:108 offset1:160
	ds_store_2addr_b64 v79, v[19:20], v[29:30] offset0:84 offset1:136
	;; [unrolled: 1-line block ×3, first 2 shown]
	v_add_nc_u32_e32 v70, 0x200, v57
	v_add_nc_u32_e32 v64, 0x400, v57
	v_fma_f32 v58, v4, 2.0, -v59
	v_sub_f32_e32 v37, v16, v37
	v_fma_f32 v42, v31, 2.0, -v43
	v_dual_sub_f32 v67, v8, v35 :: v_dual_add_nc_u32 v32, 0x1200, v57
	global_wb scope:SCOPE_SE
	s_wait_dscnt 0x0
	s_wait_kmcnt 0x0
	s_barrier_signal -1
	s_barrier_wait -1
	global_inv scope:SCOPE_SE
	ds_load_2addr_b32 v[0:1], v57 offset1:52
	ds_load_2addr_b32 v[30:31], v57 offset0:104 offset1:156
	ds_load_2addr_b32 v[28:29], v70 offset0:80 offset1:132
	;; [unrolled: 1-line block ×4, first 2 shown]
	v_sub_f32_e32 v55, v10, v55
	v_sub_f32_e32 v47, v6, v47
	v_add_nc_u32_e32 v33, 0xa00, v57
	v_and_b32_e32 v35, 1, v90
	v_add_nc_u32_e32 v75, 0x1000, v57
	v_fma_f32 v36, v16, 2.0, -v37
	v_fma_f32 v66, v8, 2.0, -v67
	;; [unrolled: 1-line block ×4, first 2 shown]
	ds_load_2addr_b32 v[18:19], v72 offset0:8 offset1:60
	ds_load_2addr_b32 v[12:13], v72 offset0:112 offset1:164
	;; [unrolled: 1-line block ×8, first 2 shown]
	global_wb scope:SCOPE_SE
	s_wait_dscnt 0x0
	s_barrier_signal -1
	s_barrier_wait -1
	global_inv scope:SCOPE_SE
	ds_store_2addr_b64 v73, v[58:59], v[38:39] offset1:104
	ds_store_2addr_b64 v73, v[62:63], v[50:51] offset0:156 offset1:208
	v_mul_u32_u24_e32 v38, 12, v35
	ds_store_b64 v76, v[48:49]
	ds_store_b64 v2, v[52:53]
	ds_store_b64 v3, v[36:37]
	ds_store_2addr_b64 v77, v[40:41], v[42:43] offset0:108 offset1:160
	ds_store_2addr_b64 v79, v[44:45], v[66:67] offset0:84 offset1:136
	;; [unrolled: 1-line block ×3, first 2 shown]
	global_wb scope:SCOPE_SE
	s_wait_dscnt 0x0
	s_barrier_signal -1
	s_barrier_wait -1
	v_lshlrev_b32_e32 v2, 3, v38
	global_inv scope:SCOPE_SE
	s_clause 0x5
	global_load_b128 v[47:50], v2, s[4:5]
	global_load_b128 v[51:54], v2, s[4:5] offset:16
	global_load_b128 v[58:61], v2, s[4:5] offset:32
	;; [unrolled: 1-line block ×5, first 2 shown]
	v_cmp_gt_u32_e64 s0, 26, v90
	s_wait_loadcnt 0x5
	v_mul_f32_e32 v40, v30, v48
	v_mul_f32_e32 v44, v31, v48
	s_wait_loadcnt 0x3
	v_mul_f32_e32 v110, v18, v59
	s_wait_loadcnt 0x2
	v_mul_f32_e32 v112, v14, v66
	ds_load_2addr_b32 v[62:63], v57 offset0:104 offset1:156
	ds_load_2addr_b32 v[76:77], v70 offset0:80 offset1:132
	;; [unrolled: 1-line block ×12, first 2 shown]
	ds_load_2addr_b32 v[2:3], v57 offset1:52
	v_mul_f32_e32 v73, v22, v52
	v_mul_f32_e32 v111, v12, v61
	;; [unrolled: 1-line block ×3, first 2 shown]
	s_wait_loadcnt 0x1
	v_mul_f32_e32 v115, v10, v80
	global_wb scope:SCOPE_SE
	s_wait_loadcnt_dscnt 0x0
	s_barrier_signal -1
	s_barrier_wait -1
	v_mul_f32_e32 v55, v62, v48
	v_mul_f32_e32 v41, v63, v48
	;; [unrolled: 1-line block ×5, first 2 shown]
	v_dual_mul_f32 v50, v29, v50 :: v_dual_mul_f32 v71, v87, v52
	v_mul_f32_e32 v38, v88, v52
	v_mul_f32_e32 v52, v23, v52
	;; [unrolled: 1-line block ×5, first 2 shown]
	v_dual_mul_f32 v116, v103, v82 :: v_dual_fmac_f32 v55, v30, v47
	v_fma_f32 v62, v62, v47, -v40
	v_mul_f32_e32 v30, v96, v61
	s_delay_alu instid0(VALU_DEP_4)
	v_dual_fmac_f32 v36, v19, v58 :: v_dual_fmac_f32 v69, v28, v49
	v_dual_fmac_f32 v114, v10, v79 :: v_dual_fmac_f32 v39, v29, v49
	v_fmac_f32_e32 v46, v16, v67
	v_fma_f32 v48, v76, v49, -v48
	v_fma_f32 v40, v77, v49, -v50
	v_dual_mul_f32 v50, v107, v86 :: v_dual_mul_f32 v49, v6, v84
	v_dual_mul_f32 v42, v95, v61 :: v_dual_mul_f32 v43, v97, v66
	v_fmac_f32_e32 v41, v31, v47
	v_fma_f32 v31, v88, v51, -v52
	v_mul_f32_e32 v52, v11, v80
	s_delay_alu instid0(VALU_DEP_4)
	v_fmac_f32_e32 v42, v12, v60
	v_fmac_f32_e32 v50, v4, v85
	v_fma_f32 v49, v105, v83, -v49
	v_mul_f32_e32 v89, v91, v54
	v_dual_mul_f32 v109, v20, v54 :: v_dual_fmac_f32 v38, v23, v51
	v_dual_mul_f32 v45, v93, v59 :: v_dual_mul_f32 v28, v98, v66
	v_mul_f32_e32 v37, v92, v54
	v_dual_mul_f32 v54, v21, v54 :: v_dual_mul_f32 v59, v19, v59
	v_fmac_f32_e32 v30, v13, v60
	v_fma_f32 v47, v63, v47, -v44
	v_dual_mul_f32 v63, v8, v82 :: v_dual_fmac_f32 v28, v15, v65
	v_dual_mul_f32 v117, v105, v84 :: v_dual_fmac_f32 v116, v8, v81
	;; [unrolled: 1-line block ×3, first 2 shown]
	v_dual_mul_f32 v22, v102, v80 :: v_dual_mul_f32 v61, v4, v86
	v_fma_f32 v4, v102, v79, -v52
	v_sub_f32_e32 v52, v48, v49
	v_mul_f32_e32 v29, v100, v68
	v_mul_f32_e32 v68, v17, v68
	v_fma_f32 v73, v87, v51, -v73
	v_mul_f32_e32 v51, v108, v86
	v_fmac_f32_e32 v45, v18, v58
	v_fma_f32 v80, v93, v58, -v110
	v_fma_f32 v18, v94, v58, -v59
	;; [unrolled: 1-line block ×3, first 2 shown]
	v_fmac_f32_e32 v89, v20, v53
	v_fma_f32 v20, v92, v53, -v54
	v_dual_mul_f32 v54, v5, v86 :: v_dual_fmac_f32 v117, v6, v83
	v_dual_mul_f32 v92, 0x3f7e222b, v52 :: v_dual_mul_f32 v23, v104, v82
	v_fmac_f32_e32 v22, v11, v79
	v_fma_f32 v58, v107, v85, -v61
	v_dual_mul_f32 v66, v15, v66 :: v_dual_fmac_f32 v37, v21, v53
	v_mul_f32_e32 v76, v9, v82
	v_fma_f32 v19, v95, v60, -v111
	v_fma_f32 v12, v96, v60, -v44
	;; [unrolled: 1-line block ×3, first 2 shown]
	v_sub_f32_e32 v11, v55, v50
	v_add_f32_e32 v54, v2, v62
	v_sub_f32_e32 v60, v69, v117
	v_fmac_f32_e32 v23, v9, v81
	v_add_f32_e32 v9, v55, v50
	v_add_f32_e32 v55, v0, v55
	;; [unrolled: 1-line block ×3, first 2 shown]
	v_fmac_f32_e32 v51, v5, v85
	v_sub_f32_e32 v5, v62, v58
	v_mul_f32_e32 v21, v106, v84
	v_fma_f32 v77, v91, v53, -v109
	v_fma_f32 v13, v98, v65, -v66
	v_add_f32_e32 v48, v54, v48
	s_delay_alu instid0(VALU_DEP_4) | instskip(SKIP_2) | instid1(VALU_DEP_3)
	v_dual_mul_f32 v66, 0xbeedf032, v5 :: v_dual_fmac_f32 v21, v7, v83
	v_add_f32_e32 v54, v55, v69
	v_mul_f32_e32 v53, v7, v84
	v_dual_add_f32 v7, v62, v58 :: v_dual_fmamk_f32 v96, v9, 0x3f62ad3f, v66
	v_fma_f32 v6, v104, v81, -v76
	v_mul_f32_e32 v82, 0xbf6f5d39, v5
	v_dual_fmac_f32 v43, v14, v65 :: v_dual_mul_f32 v86, 0xbf52af12, v52
	s_delay_alu instid0(VALU_DEP_4)
	v_mul_f32_e32 v76, 0x3f116cb1, v7
	v_dual_fmac_f32 v29, v17, v67 :: v_dual_mul_f32 v88, 0xbe750f2a, v52
	v_fma_f32 v17, v99, v67, -v113
	v_fma_f32 v14, v100, v67, -v68
	v_mul_f32_e32 v68, 0xbf52af12, v5
	v_fma_f32 v15, v106, v83, -v53
	v_add_f32_e32 v53, v69, v117
	v_fmamk_f32 v99, v11, 0x3f52af12, v76
	v_fmac_f32_e32 v76, 0xbf52af12, v11
	v_dual_fmamk_f32 v102, v9, 0xbeb58ec6, v82 :: v_dual_mul_f32 v69, 0xbeb58ec6, v59
	v_fma_f32 v44, v97, v65, -v112
	v_fma_f32 v10, v101, v79, -v115
	s_delay_alu instid0(VALU_DEP_4)
	v_dual_add_f32 v76, v2, v76 :: v_dual_mul_f32 v79, 0xbf7e222b, v5
	v_add_f32_e32 v54, v54, v71
	v_dual_mul_f32 v83, 0xbeb58ec6, v7 :: v_dual_add_f32 v48, v48, v73
	v_fma_f32 v66, 0x3f62ad3f, v9, -v66
	v_fmamk_f32 v112, v60, 0x3f6f5d39, v69
	v_dual_mul_f32 v81, 0x3df6dbef, v7 :: v_dual_fmamk_f32 v110, v53, 0x3df6dbef, v92
	v_dual_add_f32 v62, v73, v8 :: v_dual_mul_f32 v67, 0x3f62ad3f, v7
	v_add_f32_e32 v96, v0, v96
	v_mul_f32_e32 v84, 0xbf29c268, v5
	v_dual_mul_f32 v85, 0xbf3f9e67, v7 :: v_dual_add_f32 v66, v0, v66
	v_mul_f32_e32 v5, 0xbe750f2a, v5
	v_dual_mul_f32 v7, 0xbf788fa5, v7 :: v_dual_fmamk_f32 v108, v53, 0xbf788fa5, v88
	v_fmamk_f32 v98, v9, 0x3f116cb1, v68
	v_mul_f32_e32 v87, 0xbf6f5d39, v52
	v_fmamk_f32 v100, v9, 0x3df6dbef, v79
	v_dual_fmamk_f32 v101, v11, 0x3f7e222b, v81 :: v_dual_add_f32 v54, v54, v89
	v_dual_fmamk_f32 v103, v11, 0x3f6f5d39, v83 :: v_dual_add_f32 v48, v48, v77
	v_dual_add_f32 v61, v71, v116 :: v_dual_fmamk_f32 v104, v9, 0xbf3f9e67, v84
	v_dual_sub_f32 v63, v71, v116 :: v_dual_fmamk_f32 v106, v9, 0xbf788fa5, v5
	v_mul_f32_e32 v94, 0xbf3f9e67, v59
	v_dual_mul_f32 v95, 0x3df6dbef, v59 :: v_dual_add_f32 v100, v0, v100
	v_sub_f32_e32 v65, v73, v8
	v_fma_f32 v68, 0x3f116cb1, v9, -v68
	v_fma_f32 v79, 0x3df6dbef, v9, -v79
	s_delay_alu instid0(VALU_DEP_4)
	v_fmamk_f32 v118, v60, 0xbf7e222b, v95
	v_fmac_f32_e32 v81, 0xbf7e222b, v11
	v_fma_f32 v82, 0xbeb58ec6, v9, -v82
	v_fmamk_f32 v97, v11, 0x3eedf032, v67
	v_dual_fmac_f32 v67, 0xbeedf032, v11 :: v_dual_add_f32 v104, v0, v104
	v_dual_fmac_f32 v83, 0xbf6f5d39, v11 :: v_dual_add_f32 v106, v0, v106
	v_fmamk_f32 v105, v11, 0x3f29c268, v85
	v_fma_f32 v84, 0xbf3f9e67, v9, -v84
	v_fma_f32 v5, 0xbf788fa5, v9, -v5
	v_fmac_f32_e32 v85, 0xbf29c268, v11
	v_fmamk_f32 v9, v11, 0x3e750f2a, v7
	v_fmac_f32_e32 v69, 0xbf6f5d39, v60
	v_fmac_f32_e32 v7, 0xbe750f2a, v11
	v_dual_fmamk_f32 v11, v53, 0x3f116cb1, v86 :: v_dual_add_f32 v54, v54, v45
	v_dual_add_f32 v98, v0, v98 :: v_dual_fmamk_f32 v107, v53, 0xbeb58ec6, v87
	v_add_f32_e32 v48, v48, v80
	v_mul_f32_e32 v91, 0x3f29c268, v52
	v_mul_f32_e32 v52, 0x3eedf032, v52
	v_add_f32_e32 v54, v54, v42
	v_dual_add_f32 v98, v107, v98 :: v_dual_mul_f32 v93, 0xbf788fa5, v59
	s_delay_alu instid0(VALU_DEP_4) | instskip(NEXT) | instid1(VALU_DEP_4)
	v_fmamk_f32 v109, v53, 0xbf3f9e67, v91
	v_dual_fmamk_f32 v111, v53, 0x3f62ad3f, v52 :: v_dual_add_f32 v48, v48, v19
	s_delay_alu instid0(VALU_DEP_4)
	v_add_f32_e32 v54, v54, v43
	v_dual_mul_f32 v55, 0x3f116cb1, v59 :: v_dual_add_f32 v68, v0, v68
	v_dual_mul_f32 v59, 0x3f62ad3f, v59 :: v_dual_add_f32 v102, v0, v102
	v_fma_f32 v91, 0xbf3f9e67, v53, -v91
	v_dual_mul_f32 v71, 0x3df6dbef, v62 :: v_dual_add_f32 v48, v48, v44
	v_dual_add_f32 v11, v11, v96 :: v_dual_mul_f32 v96, 0xbf788fa5, v62
	v_add_f32_e32 v82, v0, v82
	v_fmamk_f32 v113, v60, 0x3e750f2a, v93
	v_dual_fmac_f32 v93, 0xbe750f2a, v60 :: v_dual_add_f32 v54, v54, v46
	v_fma_f32 v86, 0x3f116cb1, v53, -v86
	v_fma_f32 v87, 0xbeb58ec6, v53, -v87
	;; [unrolled: 1-line block ×5, first 2 shown]
	v_dual_fmamk_f32 v115, v60, 0xbf29c268, v94 :: v_dual_add_f32 v54, v54, v114
	v_fmac_f32_e32 v94, 0x3f29c268, v60
	v_dual_fmac_f32 v95, 0x3f7e222b, v60 :: v_dual_add_f32 v48, v48, v17
	v_fmamk_f32 v119, v60, 0xbeedf032, v59
	v_fmac_f32_e32 v59, 0x3eedf032, v60
	v_add_f32_e32 v73, v2, v97
	v_add_f32_e32 v101, v2, v101
	;; [unrolled: 1-line block ×3, first 2 shown]
	v_dual_add_f32 v103, v2, v103 :: v_dual_add_f32 v84, v0, v84
	v_add_f32_e32 v0, v0, v5
	v_dual_add_f32 v82, v91, v82 :: v_dual_fmamk_f32 v53, v60, 0x3f52af12, v55
	v_fmac_f32_e32 v55, 0xbf52af12, v60
	v_mul_f32_e32 v60, 0xbf7e222b, v65
	v_add_f32_e32 v66, v86, v66
	v_dual_fmamk_f32 v86, v63, 0x3f7e222b, v71 :: v_dual_add_f32 v99, v2, v99
	v_add_f32_e32 v81, v2, v81
	v_add_f32_e32 v83, v2, v83
	v_add_f32_e32 v105, v2, v105
	v_add_f32_e32 v85, v2, v85
	v_add_f32_e32 v9, v2, v9
	v_add_f32_e32 v79, v88, v79
	v_dual_add_f32 v48, v48, v10 :: v_dual_add_f32 v67, v2, v67
	v_dual_add_f32 v2, v2, v7 :: v_dual_add_f32 v7, v87, v68
	v_add_f32_e32 v68, v69, v76
	v_add_f32_e32 v76, v113, v101
	v_dual_add_f32 v53, v53, v73 :: v_dual_add_f32 v52, v52, v0
	v_dual_fmamk_f32 v73, v61, 0x3df6dbef, v60 :: v_dual_add_f32 v0, v54, v116
	v_dual_add_f32 v8, v48, v8 :: v_dual_fmac_f32 v71, 0xbf7e222b, v63
	v_dual_add_f32 v48, v59, v2 :: v_dual_mul_f32 v97, 0xbe750f2a, v65
	v_add_f32_e32 v84, v92, v84
	s_delay_alu instid0(VALU_DEP_4) | instskip(NEXT) | instid1(VALU_DEP_4)
	v_dual_add_f32 v0, v0, v117 :: v_dual_fmamk_f32 v107, v63, 0x3e750f2a, v96
	v_add_f32_e32 v2, v8, v49
	v_fma_f32 v60, 0x3df6dbef, v61, -v60
	s_delay_alu instid0(VALU_DEP_3)
	v_dual_add_f32 v53, v86, v53 :: v_dual_add_f32 v0, v0, v50
	v_mul_f32_e32 v50, 0x3f6f5d39, v65
	v_add_f32_e32 v88, v115, v103
	v_dual_add_f32 v55, v55, v67 :: v_dual_add_f32 v2, v2, v58
	v_mul_f32_e32 v58, 0xbeb58ec6, v62
	v_dual_fmamk_f32 v67, v61, 0xbf788fa5, v97 :: v_dual_add_f32 v8, v60, v66
	v_add_f32_e32 v81, v93, v81
	v_fmamk_f32 v59, v61, 0xbeb58ec6, v50
	v_mul_f32_e32 v60, 0x3eedf032, v65
	v_fmamk_f32 v66, v63, 0xbf6f5d39, v58
	v_dual_fmac_f32 v58, 0x3f6f5d39, v63 :: v_dual_add_f32 v69, v108, v100
	v_dual_add_f32 v54, v67, v98 :: v_dual_add_f32 v5, v112, v99
	s_delay_alu instid0(VALU_DEP_3) | instskip(SKIP_1) | instid1(VALU_DEP_4)
	v_add_f32_e32 v66, v66, v76
	v_fma_f32 v50, 0xbeb58ec6, v61, -v50
	v_dual_fmamk_f32 v67, v61, 0x3f62ad3f, v60 :: v_dual_add_f32 v58, v58, v81
	v_add_f32_e32 v59, v59, v69
	v_mul_f32_e32 v69, 0xbf52af12, v65
	v_fma_f32 v60, 0x3f62ad3f, v61, -v60
	v_add_f32_e32 v83, v94, v83
	v_add_f32_e32 v85, v95, v85
	v_add_f32_e32 v49, v71, v55
	v_fma_f32 v55, 0xbf788fa5, v61, -v97
	v_fmac_f32_e32 v96, 0xbe750f2a, v63
	v_fmamk_f32 v76, v61, 0x3f116cb1, v69
	v_add_f32_e32 v50, v50, v79
	v_dual_add_f32 v60, v60, v82 :: v_dual_mul_f32 v65, 0xbf29c268, v65
	v_sub_f32_e32 v82, v77, v10
	v_add_f32_e32 v10, v77, v10
	v_fma_f32 v69, 0x3f116cb1, v61, -v69
	v_add_f32_e32 v91, v110, v104
	v_fmamk_f32 v81, v61, 0xbf3f9e67, v65
	v_fma_f32 v61, 0xbf3f9e67, v61, -v65
	v_sub_f32_e32 v65, v89, v114
	v_mul_f32_e32 v77, 0xbeb58ec6, v10
	v_add_f32_e32 v7, v55, v7
	v_dual_add_f32 v55, v96, v68 :: v_dual_mul_f32 v68, 0x3f62ad3f, v62
	v_add_f32_e32 v11, v73, v11
	v_mul_f32_e32 v73, 0x3f116cb1, v62
	v_mul_f32_e32 v62, 0xbf3f9e67, v62
	v_add_f32_e32 v92, v111, v106
	v_fmamk_f32 v71, v63, 0xbeedf032, v68
	v_dual_fmac_f32 v68, 0x3eedf032, v63 :: v_dual_add_f32 v87, v109, v102
	v_add_f32_e32 v9, v119, v9
	v_add_f32_e32 v5, v107, v5
	s_delay_alu instid0(VALU_DEP_3)
	v_dual_fmamk_f32 v79, v63, 0x3f52af12, v73 :: v_dual_add_f32 v68, v68, v83
	v_dual_fmac_f32 v73, 0xbf52af12, v63 :: v_dual_add_f32 v52, v61, v52
	v_fmamk_f32 v83, v63, 0x3f29c268, v62
	v_dual_fmac_f32 v62, 0xbf29c268, v63 :: v_dual_add_f32 v69, v69, v84
	v_add_f32_e32 v84, v89, v114
	v_mul_f32_e32 v61, 0x3f29c268, v82
	s_delay_alu instid0(VALU_DEP_3)
	v_dual_add_f32 v9, v83, v9 :: v_dual_add_f32 v48, v62, v48
	v_add_f32_e32 v73, v73, v85
	v_mul_f32_e32 v85, 0xbf6f5d39, v82
	v_fmamk_f32 v62, v65, 0x3f6f5d39, v77
	v_fmac_f32_e32 v77, 0xbf6f5d39, v65
	v_mul_f32_e32 v83, 0xbf3f9e67, v10
	v_dual_add_f32 v93, v118, v105 :: v_dual_add_f32 v76, v76, v91
	s_delay_alu instid0(VALU_DEP_4) | instskip(NEXT) | instid1(VALU_DEP_4)
	v_add_f32_e32 v53, v62, v53
	v_add_f32_e32 v49, v77, v49
	v_fmamk_f32 v63, v84, 0xbeb58ec6, v85
	v_fmamk_f32 v62, v65, 0xbf29c268, v83
	v_fmac_f32_e32 v83, 0x3f29c268, v65
	global_inv scope:SCOPE_SE
	v_add_f32_e32 v11, v63, v11
	v_fma_f32 v63, 0xbeb58ec6, v84, -v85
	v_dual_add_f32 v5, v62, v5 :: v_dual_mul_f32 v62, 0x3f62ad3f, v10
	v_add_f32_e32 v67, v67, v87
	v_add_f32_e32 v55, v83, v55
	s_delay_alu instid0(VALU_DEP_4) | instskip(NEXT) | instid1(VALU_DEP_4)
	v_dual_add_f32 v8, v63, v8 :: v_dual_mul_f32 v63, 0x3eedf032, v82
	v_fmamk_f32 v83, v65, 0xbeedf032, v62
	v_fmac_f32_e32 v62, 0x3eedf032, v65
	s_delay_alu instid0(VALU_DEP_2) | instskip(NEXT) | instid1(VALU_DEP_2)
	v_add_f32_e32 v66, v83, v66
	v_dual_add_f32 v58, v62, v58 :: v_dual_fmamk_f32 v77, v84, 0x3f62ad3f, v63
	v_fma_f32 v63, 0x3f62ad3f, v84, -v63
	v_mul_f32_e32 v83, 0x3df6dbef, v10
	v_add_f32_e32 v71, v71, v88
	s_delay_alu instid0(VALU_DEP_3) | instskip(SKIP_2) | instid1(VALU_DEP_3)
	v_dual_add_f32 v50, v63, v50 :: v_dual_fmamk_f32 v85, v84, 0xbf3f9e67, v61
	v_fma_f32 v61, 0xbf3f9e67, v84, -v61
	v_mul_f32_e32 v63, 0x3e750f2a, v82
	v_add_f32_e32 v54, v85, v54
	s_delay_alu instid0(VALU_DEP_3) | instskip(SKIP_4) | instid1(VALU_DEP_4)
	v_add_f32_e32 v7, v61, v7
	v_mul_f32_e32 v61, 0xbf7e222b, v82
	v_add_f32_e32 v59, v77, v59
	v_fmamk_f32 v85, v84, 0xbf788fa5, v63
	v_fma_f32 v63, 0xbf788fa5, v84, -v63
	v_fmamk_f32 v77, v84, 0x3df6dbef, v61
	v_fma_f32 v61, 0x3df6dbef, v84, -v61
	s_delay_alu instid0(VALU_DEP_2) | instskip(SKIP_1) | instid1(VALU_DEP_3)
	v_add_f32_e32 v62, v77, v67
	v_fmamk_f32 v67, v65, 0x3f7e222b, v83
	v_dual_mul_f32 v77, 0xbf788fa5, v10 :: v_dual_add_f32 v60, v61, v60
	v_dual_add_f32 v79, v79, v93 :: v_dual_mul_f32 v10, 0x3f116cb1, v10
	s_delay_alu instid0(VALU_DEP_3) | instskip(NEXT) | instid1(VALU_DEP_3)
	v_add_f32_e32 v67, v67, v71
	v_fmamk_f32 v61, v65, 0xbe750f2a, v77
	v_dual_add_f32 v71, v85, v76 :: v_dual_mul_f32 v76, 0x3f52af12, v82
	v_fmac_f32_e32 v77, 0x3e750f2a, v65
	v_fmamk_f32 v82, v65, 0xbf52af12, v10
	s_delay_alu instid0(VALU_DEP_4) | instskip(NEXT) | instid1(VALU_DEP_4)
	v_dual_add_f32 v61, v61, v79 :: v_dual_fmac_f32 v10, 0x3f52af12, v65
	v_fmamk_f32 v79, v84, 0x3f116cb1, v76
	v_add_f32_e32 v63, v63, v69
	v_sub_f32_e32 v69, v80, v17
	v_add_f32_e32 v81, v81, v92
	v_dual_add_f32 v17, v80, v17 :: v_dual_add_f32 v10, v10, v48
	v_add_f32_e32 v73, v77, v73
	s_delay_alu instid0(VALU_DEP_4) | instskip(NEXT) | instid1(VALU_DEP_4)
	v_mul_f32_e32 v48, 0x3f7e222b, v69
	v_add_f32_e32 v77, v79, v81
	v_add_f32_e32 v79, v45, v46
	v_mul_f32_e32 v81, 0xbf29c268, v69
	v_fmac_f32_e32 v83, 0xbf7e222b, v65
	v_dual_sub_f32 v45, v45, v46 :: v_dual_mul_f32 v46, 0xbf3f9e67, v17
	v_fma_f32 v76, 0x3f116cb1, v84, -v76
	s_delay_alu instid0(VALU_DEP_4) | instskip(SKIP_2) | instid1(VALU_DEP_3)
	v_fmamk_f32 v65, v79, 0xbf3f9e67, v81
	v_mul_f32_e32 v80, 0x3df6dbef, v17
	v_dual_add_f32 v68, v83, v68 :: v_dual_add_f32 v9, v82, v9
	v_dual_add_f32 v52, v76, v52 :: v_dual_add_f32 v11, v65, v11
	v_fmamk_f32 v65, v45, 0x3f29c268, v46
	v_fmac_f32_e32 v46, 0xbf29c268, v45
	v_fma_f32 v76, 0xbf3f9e67, v79, -v81
	v_fmamk_f32 v81, v79, 0x3df6dbef, v48
	v_fma_f32 v48, 0x3df6dbef, v79, -v48
	v_add_f32_e32 v53, v65, v53
	v_dual_add_f32 v46, v46, v49 :: v_dual_fmamk_f32 v49, v45, 0xbf7e222b, v80
	v_mul_f32_e32 v65, 0xbf52af12, v69
	v_fmac_f32_e32 v80, 0x3f7e222b, v45
	v_add_f32_e32 v8, v76, v8
	v_dual_add_f32 v7, v48, v7 :: v_dual_add_f32 v54, v81, v54
	s_delay_alu instid0(VALU_DEP_4) | instskip(NEXT) | instid1(VALU_DEP_4)
	v_fmamk_f32 v76, v79, 0x3f116cb1, v65
	v_dual_add_f32 v48, v80, v55 :: v_dual_mul_f32 v55, 0x3e750f2a, v69
	v_fma_f32 v65, 0x3f116cb1, v79, -v65
	v_sub_f32_e32 v92, v40, v15
	s_delay_alu instid0(VALU_DEP_3) | instskip(NEXT) | instid1(VALU_DEP_3)
	v_dual_add_f32 v59, v76, v59 :: v_dual_fmamk_f32 v76, v79, 0xbf788fa5, v55
	v_add_f32_e32 v50, v65, v50
	v_fma_f32 v55, 0xbf788fa5, v79, -v55
	s_delay_alu instid0(VALU_DEP_3) | instskip(SKIP_2) | instid1(VALU_DEP_4)
	v_dual_mul_f32 v93, 0xbf52af12, v92 :: v_dual_add_f32 v62, v76, v62
	v_add_f32_e32 v49, v49, v5
	v_mul_f32_e32 v5, 0x3f116cb1, v17
	v_dual_mul_f32 v76, 0x3f62ad3f, v17 :: v_dual_add_f32 v55, v55, v60
	s_delay_alu instid0(VALU_DEP_2) | instskip(NEXT) | instid1(VALU_DEP_1)
	v_fmamk_f32 v80, v45, 0x3f52af12, v5
	v_dual_fmac_f32 v5, 0xbf52af12, v45 :: v_dual_add_f32 v66, v80, v66
	v_mul_f32_e32 v80, 0xbf788fa5, v17
	s_delay_alu instid0(VALU_DEP_2) | instskip(SKIP_2) | instid1(VALU_DEP_4)
	v_dual_add_f32 v58, v5, v58 :: v_dual_mul_f32 v5, 0x3eedf032, v69
	v_mul_f32_e32 v69, 0xbf6f5d39, v69
	v_mul_f32_e32 v17, 0xbeb58ec6, v17
	v_fmamk_f32 v65, v45, 0xbe750f2a, v80
	v_fmac_f32_e32 v80, 0x3e750f2a, v45
	v_fmamk_f32 v81, v79, 0x3f62ad3f, v5
	v_fma_f32 v5, 0x3f62ad3f, v79, -v5
	s_delay_alu instid0(VALU_DEP_4) | instskip(NEXT) | instid1(VALU_DEP_4)
	v_add_f32_e32 v65, v65, v67
	v_dual_fmamk_f32 v67, v45, 0xbeedf032, v76 :: v_dual_add_f32 v60, v80, v68
	s_delay_alu instid0(VALU_DEP_4) | instskip(SKIP_2) | instid1(VALU_DEP_4)
	v_add_f32_e32 v68, v81, v71
	v_fmac_f32_e32 v76, 0x3eedf032, v45
	v_fmamk_f32 v71, v45, 0x3f6f5d39, v17
	v_add_f32_e32 v61, v67, v61
	v_fmamk_f32 v67, v79, 0xbeb58ec6, v69
	v_dual_sub_f32 v80, v19, v44 :: v_dual_add_f32 v63, v5, v63
	v_add_f32_e32 v73, v76, v73
	v_add_f32_e32 v71, v71, v9
	s_delay_alu instid0(VALU_DEP_4) | instskip(SKIP_4) | instid1(VALU_DEP_4)
	v_add_f32_e32 v67, v67, v77
	v_dual_add_f32 v77, v19, v44 :: v_dual_add_f32 v76, v42, v43
	v_mul_f32_e32 v5, 0xbe750f2a, v80
	v_fma_f32 v9, 0xbeb58ec6, v79, -v69
	v_fmac_f32_e32 v17, 0xbf6f5d39, v45
	v_dual_sub_f32 v69, v42, v43 :: v_dual_mul_f32 v42, 0xbf788fa5, v77
	s_delay_alu instid0(VALU_DEP_4) | instskip(NEXT) | instid1(VALU_DEP_4)
	v_fmamk_f32 v19, v76, 0xbf788fa5, v5
	v_add_f32_e32 v79, v9, v52
	s_delay_alu instid0(VALU_DEP_4) | instskip(SKIP_4) | instid1(VALU_DEP_4)
	v_add_f32_e32 v81, v17, v10
	v_mul_f32_e32 v9, 0x3eedf032, v80
	v_fmamk_f32 v10, v69, 0x3e750f2a, v42
	v_fma_f32 v5, 0xbf788fa5, v76, -v5
	v_dual_mul_f32 v52, 0x3f62ad3f, v77 :: v_dual_add_f32 v19, v19, v11
	v_fmamk_f32 v17, v76, 0x3f62ad3f, v9
	s_delay_alu instid0(VALU_DEP_4) | instskip(NEXT) | instid1(VALU_DEP_4)
	v_add_f32_e32 v11, v10, v53
	v_add_f32_e32 v43, v5, v8
	s_delay_alu instid0(VALU_DEP_4)
	v_fmamk_f32 v8, v69, 0xbeedf032, v52
	v_mul_f32_e32 v10, 0xbf29c268, v80
	v_add_f32_e32 v44, v17, v54
	v_fma_f32 v9, 0x3f62ad3f, v76, -v9
	v_fmac_f32_e32 v52, 0x3eedf032, v69
	v_mul_f32_e32 v53, 0xbf3f9e67, v77
	v_add_f32_e32 v17, v8, v49
	v_fmamk_f32 v8, v76, 0xbf3f9e67, v10
	v_fma_f32 v10, 0xbf3f9e67, v76, -v10
	v_mul_f32_e32 v49, 0x3f52af12, v80
	v_dual_fmac_f32 v42, 0xbe750f2a, v69 :: v_dual_add_f32 v45, v9, v7
	v_add_f32_e32 v7, v52, v48
	v_fmamk_f32 v9, v69, 0x3f29c268, v53
	v_dual_fmac_f32 v53, 0xbf29c268, v69 :: v_dual_add_f32 v48, v10, v50
	v_fmamk_f32 v10, v76, 0x3f116cb1, v49
	v_add_f32_e32 v50, v1, v41
	v_dual_add_f32 v52, v3, v47 :: v_dual_add_f32 v5, v42, v46
	v_add_f32_e32 v46, v8, v59
	v_add_f32_e32 v8, v53, v58
	v_add_f32_e32 v53, v10, v62
	v_add_f32_e32 v10, v50, v39
	v_add_f32_e32 v50, v52, v40
	v_dual_add_f32 v42, v9, v66 :: v_dual_mul_f32 v9, 0x3f116cb1, v77
	v_mul_f32_e32 v59, 0xbeb58ec6, v77
	v_fma_f32 v58, 0x3f116cb1, v76, -v49
	s_delay_alu instid0(VALU_DEP_4)
	v_add_f32_e32 v50, v50, v31
	v_add_f32_e32 v10, v10, v38
	v_fmamk_f32 v54, v69, 0xbf52af12, v9
	v_fmac_f32_e32 v9, 0x3f52af12, v69
	v_mul_f32_e32 v52, 0xbf6f5d39, v80
	v_add_f32_e32 v50, v50, v20
	v_add_f32_e32 v10, v10, v37
	;; [unrolled: 1-line block ×4, first 2 shown]
	v_fmamk_f32 v60, v69, 0x3f6f5d39, v59
	v_add_f32_e32 v50, v50, v18
	v_dual_add_f32 v54, v58, v55 :: v_dual_fmamk_f32 v55, v76, 0xbeb58ec6, v52
	v_fma_f32 v62, 0xbeb58ec6, v76, -v52
	v_add_f32_e32 v66, v41, v51
	s_delay_alu instid0(VALU_DEP_4) | instskip(SKIP_3) | instid1(VALU_DEP_4)
	v_add_f32_e32 v50, v50, v12
	v_add_f32_e32 v52, v60, v61
	v_dual_mul_f32 v61, 0x3df6dbef, v77 :: v_dual_add_f32 v10, v10, v36
	v_add_f32_e32 v58, v55, v68
	v_add_f32_e32 v50, v50, v13
	;; [unrolled: 1-line block ×3, first 2 shown]
	s_delay_alu instid0(VALU_DEP_4) | instskip(SKIP_1) | instid1(VALU_DEP_4)
	v_dual_fmamk_f32 v63, v69, 0xbf7e222b, v61 :: v_dual_add_f32 v10, v10, v30
	v_fmac_f32_e32 v59, 0xbf6f5d39, v69
	v_dual_add_f32 v65, v50, v14 :: v_dual_mul_f32 v60, 0x3f7e222b, v80
	s_delay_alu instid0(VALU_DEP_3) | instskip(NEXT) | instid1(VALU_DEP_4)
	v_add_f32_e32 v50, v63, v71
	v_add_f32_e32 v62, v10, v28
	s_delay_alu instid0(VALU_DEP_3) | instskip(NEXT) | instid1(VALU_DEP_2)
	v_add_f32_e32 v63, v65, v4
	v_dual_sub_f32 v65, v47, v16 :: v_dual_add_f32 v62, v62, v29
	s_delay_alu instid0(VALU_DEP_1) | instskip(SKIP_1) | instid1(VALU_DEP_3)
	v_dual_add_f32 v63, v63, v6 :: v_dual_mul_f32 v68, 0xbeedf032, v65
	v_mul_f32_e32 v86, 0xbf29c268, v65
	v_add_f32_e32 v62, v62, v22
	s_delay_alu instid0(VALU_DEP_3) | instskip(SKIP_1) | instid1(VALU_DEP_3)
	v_fmamk_f32 v71, v66, 0x3f62ad3f, v68
	v_fma_f32 v68, 0x3f62ad3f, v66, -v68
	v_add_f32_e32 v62, v62, v23
	v_fmamk_f32 v88, v66, 0xbf3f9e67, v86
	v_fma_f32 v86, 0xbf3f9e67, v66, -v86
	s_delay_alu instid0(VALU_DEP_4) | instskip(SKIP_4) | instid1(VALU_DEP_4)
	v_add_f32_e32 v68, v1, v68
	v_dual_add_f32 v10, v59, v73 :: v_dual_fmamk_f32 v59, v76, 0x3df6dbef, v60
	v_fma_f32 v60, 0x3df6dbef, v76, -v60
	v_mul_f32_e32 v76, 0xbf7e222b, v65
	v_dual_fmac_f32 v61, 0x3f7e222b, v69 :: v_dual_add_f32 v88, v1, v88
	v_add_f32_e32 v59, v59, v67
	v_add_f32_e32 v67, v47, v16
	v_dual_add_f32 v47, v62, v21 :: v_dual_add_f32 v62, v63, v15
	v_sub_f32_e32 v63, v41, v51
	v_add_f32_e32 v15, v40, v15
	s_delay_alu instid0(VALU_DEP_4) | instskip(NEXT) | instid1(VALU_DEP_4)
	v_mul_f32_e32 v80, 0x3df6dbef, v67
	v_dual_mul_f32 v69, 0x3f62ad3f, v67 :: v_dual_add_f32 v16, v62, v16
	v_mul_f32_e32 v62, 0xbf52af12, v65
	v_mul_f32_e32 v83, 0xbeb58ec6, v67
	s_delay_alu instid0(VALU_DEP_4)
	v_fmamk_f32 v82, v63, 0x3f7e222b, v80
	v_dual_fmac_f32 v80, 0xbf7e222b, v63 :: v_dual_add_f32 v41, v61, v81
	v_mul_f32_e32 v81, 0xbf6f5d39, v65
	v_dual_mul_f32 v65, 0xbe750f2a, v65 :: v_dual_add_f32 v60, v60, v79
	v_add_f32_e32 v61, v1, v71
	v_mul_f32_e32 v71, 0x3f116cb1, v67
	v_fmamk_f32 v73, v66, 0x3f116cb1, v62
	v_fma_f32 v62, 0x3f116cb1, v66, -v62
	v_fmamk_f32 v79, v66, 0x3df6dbef, v76
	v_fma_f32 v76, 0x3df6dbef, v66, -v76
	;; [unrolled: 2-line block ×3, first 2 shown]
	v_mul_f32_e32 v87, 0xbf3f9e67, v67
	v_fmamk_f32 v91, v66, 0xbf788fa5, v65
	v_mul_f32_e32 v67, 0xbf788fa5, v67
	v_fma_f32 v65, 0xbf788fa5, v66, -v65
	v_add_f32_e32 v66, v39, v21
	v_add_f32_e32 v47, v47, v51
	v_fmamk_f32 v51, v63, 0x3eedf032, v69
	v_fmac_f32_e32 v69, 0xbeedf032, v63
	v_fmamk_f32 v77, v63, 0x3f52af12, v71
	v_fmac_f32_e32 v71, 0xbf52af12, v63
	;; [unrolled: 2-line block ×5, first 2 shown]
	v_sub_f32_e32 v21, v39, v21
	v_fmamk_f32 v39, v66, 0x3f116cb1, v93
	v_mul_f32_e32 v63, 0x3f116cb1, v15
	v_add_f32_e32 v51, v3, v51
	v_add_f32_e32 v69, v3, v69
	;; [unrolled: 1-line block ×3, first 2 shown]
	v_dual_add_f32 v77, v3, v77 :: v_dual_add_f32 v62, v1, v62
	v_add_f32_e32 v71, v3, v71
	v_dual_add_f32 v79, v1, v79 :: v_dual_add_f32 v82, v3, v82
	v_add_f32_e32 v76, v1, v76
	v_add_f32_e32 v80, v3, v80
	v_dual_add_f32 v84, v1, v84 :: v_dual_add_f32 v85, v3, v85
	v_add_f32_e32 v81, v1, v81
	v_add_f32_e32 v83, v3, v83
	v_dual_add_f32 v89, v3, v89 :: v_dual_add_f32 v86, v1, v86
	v_add_f32_e32 v87, v3, v87
	v_dual_add_f32 v91, v1, v91 :: v_dual_add_f32 v40, v3, v40
	v_add_f32_e32 v1, v1, v65
	v_add_f32_e32 v3, v3, v67
	;; [unrolled: 1-line block ×3, first 2 shown]
	v_fmamk_f32 v61, v21, 0x3f52af12, v63
	v_mul_f32_e32 v65, 0xbf6f5d39, v92
	v_fma_f32 v67, 0x3f116cb1, v66, -v93
	v_fmac_f32_e32 v63, 0xbf52af12, v21
	v_mul_f32_e32 v93, 0xbeb58ec6, v15
	v_add_f32_e32 v51, v61, v51
	v_fmamk_f32 v61, v66, 0xbeb58ec6, v65
	v_add_f32_e32 v67, v67, v68
	s_delay_alu instid0(VALU_DEP_4) | instskip(SKIP_1) | instid1(VALU_DEP_4)
	v_dual_add_f32 v63, v63, v69 :: v_dual_fmamk_f32 v68, v21, 0x3f6f5d39, v93
	v_mul_f32_e32 v69, 0xbe750f2a, v92
	v_add_f32_e32 v61, v61, v73
	v_fma_f32 v65, 0xbeb58ec6, v66, -v65
	v_fmac_f32_e32 v93, 0xbf6f5d39, v21
	s_delay_alu instid0(VALU_DEP_4) | instskip(NEXT) | instid1(VALU_DEP_3)
	v_dual_add_f32 v68, v68, v77 :: v_dual_fmamk_f32 v73, v66, 0xbf788fa5, v69
	v_dual_mul_f32 v77, 0xbf788fa5, v15 :: v_dual_add_f32 v62, v65, v62
	s_delay_alu instid0(VALU_DEP_3) | instskip(SKIP_1) | instid1(VALU_DEP_4)
	v_add_f32_e32 v65, v93, v71
	v_mul_f32_e32 v71, 0x3f29c268, v92
	v_add_f32_e32 v73, v73, v79
	s_delay_alu instid0(VALU_DEP_4) | instskip(SKIP_3) | instid1(VALU_DEP_4)
	v_fmamk_f32 v79, v21, 0x3e750f2a, v77
	v_fma_f32 v69, 0xbf788fa5, v66, -v69
	v_fmac_f32_e32 v77, 0xbe750f2a, v21
	v_dual_mul_f32 v94, 0xbf3f9e67, v15 :: v_dual_fmamk_f32 v93, v66, 0xbf3f9e67, v71
	v_add_f32_e32 v79, v79, v82
	s_delay_alu instid0(VALU_DEP_4) | instskip(NEXT) | instid1(VALU_DEP_4)
	v_add_f32_e32 v69, v69, v76
	v_add_f32_e32 v76, v77, v80
	s_delay_alu instid0(VALU_DEP_4) | instskip(SKIP_4) | instid1(VALU_DEP_4)
	v_fmamk_f32 v80, v21, 0xbf29c268, v94
	v_mul_f32_e32 v82, 0x3f7e222b, v92
	v_add_f32_e32 v77, v93, v84
	v_fma_f32 v71, 0xbf3f9e67, v66, -v71
	v_mul_f32_e32 v84, 0x3df6dbef, v15
	v_dual_add_f32 v80, v80, v85 :: v_dual_fmamk_f32 v85, v66, 0x3df6dbef, v82
	v_mul_f32_e32 v92, 0x3eedf032, v92
	v_fma_f32 v82, 0x3df6dbef, v66, -v82
	v_add_f32_e32 v71, v71, v81
	v_fmamk_f32 v81, v21, 0xbf7e222b, v84
	v_dual_add_f32 v85, v85, v88 :: v_dual_fmac_f32 v84, 0x3f7e222b, v21
	v_fmamk_f32 v88, v66, 0x3f62ad3f, v92
	v_add_f32_e32 v82, v82, v86
	s_delay_alu instid0(VALU_DEP_4)
	v_dual_sub_f32 v86, v31, v6 :: v_dual_add_f32 v81, v81, v89
	v_mul_f32_e32 v15, 0x3f62ad3f, v15
	v_add_f32_e32 v84, v84, v87
	v_add_f32_e32 v87, v88, v91
	;; [unrolled: 1-line block ×3, first 2 shown]
	v_mul_f32_e32 v91, 0xbf7e222b, v86
	v_add_f32_e32 v6, v31, v6
	v_fmac_f32_e32 v94, 0x3f29c268, v21
	v_fmamk_f32 v88, v21, 0xbeedf032, v15
	v_fma_f32 v31, 0x3f62ad3f, v66, -v92
	v_fmac_f32_e32 v15, 0x3eedf032, v21
	v_sub_f32_e32 v21, v38, v23
	v_dual_fmamk_f32 v23, v89, 0x3df6dbef, v91 :: v_dual_mul_f32 v38, 0x3df6dbef, v6
	s_delay_alu instid0(VALU_DEP_4) | instskip(NEXT) | instid1(VALU_DEP_4)
	v_add_f32_e32 v1, v31, v1
	v_add_f32_e32 v3, v15, v3
	v_mul_f32_e32 v31, 0xbe750f2a, v86
	s_delay_alu instid0(VALU_DEP_4) | instskip(SKIP_4) | instid1(VALU_DEP_4)
	v_add_f32_e32 v15, v23, v39
	v_fmamk_f32 v23, v21, 0x3f7e222b, v38
	v_fmac_f32_e32 v38, 0xbf7e222b, v21
	v_mul_f32_e32 v66, 0xbf788fa5, v6
	v_fma_f32 v39, 0x3df6dbef, v89, -v91
	v_dual_add_f32 v40, v88, v40 :: v_dual_add_f32 v23, v23, v51
	s_delay_alu instid0(VALU_DEP_4) | instskip(NEXT) | instid1(VALU_DEP_4)
	v_dual_fmamk_f32 v51, v89, 0xbf788fa5, v31 :: v_dual_add_f32 v38, v38, v63
	v_fmamk_f32 v63, v21, 0x3e750f2a, v66
	v_fma_f32 v31, 0xbf788fa5, v89, -v31
	v_fmac_f32_e32 v66, 0xbe750f2a, v21
	s_delay_alu instid0(VALU_DEP_4)
	v_add_f32_e32 v51, v51, v61
	v_add_f32_e32 v39, v39, v67
	v_dual_add_f32 v61, v63, v68 :: v_dual_mul_f32 v68, 0xbeb58ec6, v6
	v_mul_f32_e32 v67, 0x3f6f5d39, v86
	v_dual_add_f32 v31, v31, v62 :: v_dual_add_f32 v62, v66, v65
	v_mul_f32_e32 v65, 0x3eedf032, v86
	s_delay_alu instid0(VALU_DEP_4)
	v_fmamk_f32 v66, v21, 0xbf6f5d39, v68
	v_fmac_f32_e32 v68, 0x3f6f5d39, v21
	v_fmamk_f32 v63, v89, 0xbeb58ec6, v67
	v_fma_f32 v67, 0xbeb58ec6, v89, -v67
	v_mul_f32_e32 v88, 0x3f62ad3f, v6
	v_add_f32_e32 v66, v66, v79
	v_add_f32_e32 v68, v68, v76
	v_dual_mul_f32 v76, 0xbf52af12, v86 :: v_dual_add_f32 v63, v63, v73
	v_fmamk_f32 v73, v89, 0x3f62ad3f, v65
	v_add_f32_e32 v83, v94, v83
	v_add_f32_e32 v67, v67, v69
	s_delay_alu instid0(VALU_DEP_4)
	v_fmamk_f32 v79, v89, 0x3f116cb1, v76
	v_fma_f32 v76, 0x3f116cb1, v89, -v76
	v_add_f32_e32 v69, v73, v77
	v_fmamk_f32 v73, v21, 0xbeedf032, v88
	v_fma_f32 v65, 0x3f62ad3f, v89, -v65
	v_mul_f32_e32 v77, 0x3f116cb1, v6
	v_fmac_f32_e32 v88, 0x3eedf032, v21
	v_add_f32_e32 v76, v76, v82
	v_sub_f32_e32 v82, v20, v4
	v_add_f32_e32 v73, v73, v80
	v_add_f32_e32 v65, v65, v71
	v_dual_fmamk_f32 v71, v21, 0x3f52af12, v77 :: v_dual_add_f32 v80, v88, v83
	v_mul_f32_e32 v83, 0xbf29c268, v86
	v_add_f32_e32 v79, v79, v85
	v_fmac_f32_e32 v77, 0xbf52af12, v21
	v_mul_f32_e32 v6, 0xbf3f9e67, v6
	v_add_f32_e32 v85, v37, v22
	v_mul_f32_e32 v86, 0xbf6f5d39, v82
	v_add_f32_e32 v4, v20, v4
	v_add_f32_e32 v77, v77, v84
	v_fmamk_f32 v84, v21, 0x3f29c268, v6
	v_fma_f32 v20, 0xbf3f9e67, v89, -v83
	v_dual_fmac_f32 v6, 0xbf29c268, v21 :: v_dual_sub_f32 v21, v37, v22
	v_dual_fmamk_f32 v22, v85, 0xbeb58ec6, v86 :: v_dual_mul_f32 v37, 0xbeb58ec6, v4
	v_add_f32_e32 v71, v71, v81
	v_fmamk_f32 v81, v89, 0xbf3f9e67, v83
	v_add_f32_e32 v1, v20, v1
	v_add_f32_e32 v3, v6, v3
	v_dual_add_f32 v6, v22, v15 :: v_dual_fmamk_f32 v15, v21, 0x3f6f5d39, v37
	v_mul_f32_e32 v20, 0x3f29c268, v82
	v_fma_f32 v22, 0xbeb58ec6, v85, -v86
	v_fmac_f32_e32 v37, 0xbf6f5d39, v21
	v_mul_f32_e32 v83, 0xbf3f9e67, v4
	v_add_f32_e32 v15, v15, v23
	s_delay_alu instid0(VALU_DEP_4) | instskip(NEXT) | instid1(VALU_DEP_4)
	v_dual_fmamk_f32 v23, v85, 0xbf3f9e67, v20 :: v_dual_add_f32 v22, v22, v39
	v_add_f32_e32 v37, v37, v38
	s_delay_alu instid0(VALU_DEP_4) | instskip(SKIP_3) | instid1(VALU_DEP_4)
	v_fmamk_f32 v38, v21, 0xbf29c268, v83
	v_mul_f32_e32 v39, 0x3eedf032, v82
	v_fma_f32 v20, 0xbf3f9e67, v85, -v20
	v_fmac_f32_e32 v83, 0x3f29c268, v21
	v_dual_add_f32 v23, v23, v51 :: v_dual_add_f32 v38, v38, v61
	s_delay_alu instid0(VALU_DEP_4) | instskip(NEXT) | instid1(VALU_DEP_4)
	v_fmamk_f32 v51, v85, 0x3f62ad3f, v39
	v_dual_mul_f32 v61, 0x3f62ad3f, v4 :: v_dual_add_f32 v20, v20, v31
	s_delay_alu instid0(VALU_DEP_4) | instskip(SKIP_1) | instid1(VALU_DEP_4)
	v_add_f32_e32 v31, v83, v62
	v_mul_f32_e32 v62, 0xbf7e222b, v82
	v_dual_add_f32 v40, v84, v40 :: v_dual_add_f32 v51, v51, v63
	s_delay_alu instid0(VALU_DEP_4) | instskip(SKIP_3) | instid1(VALU_DEP_4)
	v_fmamk_f32 v63, v21, 0xbeedf032, v61
	v_fma_f32 v39, 0x3f62ad3f, v85, -v39
	v_fmac_f32_e32 v61, 0x3eedf032, v21
	v_dual_fmamk_f32 v83, v85, 0x3df6dbef, v62 :: v_dual_mul_f32 v84, 0x3df6dbef, v4
	v_add_f32_e32 v63, v63, v66
	s_delay_alu instid0(VALU_DEP_4) | instskip(NEXT) | instid1(VALU_DEP_3)
	v_add_f32_e32 v39, v39, v67
	v_dual_add_f32 v61, v61, v68 :: v_dual_add_f32 v66, v83, v69
	s_delay_alu instid0(VALU_DEP_4) | instskip(SKIP_3) | instid1(VALU_DEP_4)
	v_fmamk_f32 v67, v21, 0x3f7e222b, v84
	v_mul_f32_e32 v68, 0x3e750f2a, v82
	v_fma_f32 v62, 0x3df6dbef, v85, -v62
	v_mul_f32_e32 v69, 0xbf788fa5, v4
	v_dual_mul_f32 v82, 0x3f52af12, v82 :: v_dual_add_f32 v67, v67, v73
	s_delay_alu instid0(VALU_DEP_3) | instskip(NEXT) | instid1(VALU_DEP_3)
	v_dual_fmamk_f32 v73, v85, 0xbf788fa5, v68 :: v_dual_add_f32 v62, v62, v65
	v_fmamk_f32 v65, v21, 0xbe750f2a, v69
	v_fma_f32 v68, 0xbf788fa5, v85, -v68
	v_add_f32_e32 v81, v81, v87
	s_delay_alu instid0(VALU_DEP_4)
	v_add_f32_e32 v73, v73, v79
	v_fmac_f32_e32 v69, 0x3e750f2a, v21
	v_add_f32_e32 v65, v65, v71
	v_dual_fmamk_f32 v71, v85, 0x3f116cb1, v82 :: v_dual_add_f32 v68, v68, v76
	v_sub_f32_e32 v76, v18, v14
	v_dual_mul_f32 v4, 0x3f116cb1, v4 :: v_dual_add_f32 v79, v36, v29
	s_delay_alu instid0(VALU_DEP_3) | instskip(NEXT) | instid1(VALU_DEP_3)
	v_dual_add_f32 v71, v71, v81 :: v_dual_add_f32 v14, v18, v14
	v_mul_f32_e32 v81, 0xbf29c268, v76
	v_fmac_f32_e32 v84, 0xbf7e222b, v21
	v_add_f32_e32 v69, v69, v77
	v_fmamk_f32 v77, v21, 0xbf52af12, v4
	v_fma_f32 v18, 0x3f116cb1, v85, -v82
	v_fmac_f32_e32 v4, 0x3f52af12, v21
	v_sub_f32_e32 v21, v36, v29
	v_dual_fmamk_f32 v29, v79, 0xbf3f9e67, v81 :: v_dual_mul_f32 v36, 0xbf3f9e67, v14
	s_delay_alu instid0(VALU_DEP_4) | instskip(NEXT) | instid1(VALU_DEP_2)
	v_dual_add_f32 v40, v77, v40 :: v_dual_add_f32 v1, v18, v1
	v_dual_add_f32 v3, v4, v3 :: v_dual_add_f32 v4, v29, v6
	s_delay_alu instid0(VALU_DEP_3) | instskip(SKIP_3) | instid1(VALU_DEP_4)
	v_fmamk_f32 v6, v21, 0x3f29c268, v36
	v_mul_f32_e32 v18, 0x3f7e222b, v76
	v_fma_f32 v29, 0xbf3f9e67, v79, -v81
	v_fmac_f32_e32 v36, 0xbf29c268, v21
	v_dual_mul_f32 v77, 0x3df6dbef, v14 :: v_dual_add_f32 v6, v6, v15
	s_delay_alu instid0(VALU_DEP_3) | instskip(NEXT) | instid1(VALU_DEP_2)
	v_dual_fmamk_f32 v15, v79, 0x3df6dbef, v18 :: v_dual_add_f32 v22, v29, v22
	v_dual_add_f32 v29, v36, v37 :: v_dual_fmamk_f32 v36, v21, 0xbf7e222b, v77
	v_mul_f32_e32 v37, 0xbf52af12, v76
	v_fma_f32 v18, 0x3df6dbef, v79, -v18
	v_fmac_f32_e32 v77, 0x3f7e222b, v21
	v_add_f32_e32 v15, v15, v23
	s_delay_alu instid0(VALU_DEP_4) | instskip(SKIP_3) | instid1(VALU_DEP_3)
	v_dual_add_f32 v23, v36, v38 :: v_dual_fmamk_f32 v36, v79, 0x3f116cb1, v37
	v_mul_f32_e32 v38, 0x3f116cb1, v14
	v_add_f32_e32 v18, v18, v20
	v_dual_add_f32 v20, v77, v31 :: v_dual_mul_f32 v31, 0x3e750f2a, v76
	v_dual_add_f32 v36, v36, v51 :: v_dual_fmamk_f32 v51, v21, 0x3f52af12, v38
	v_fma_f32 v37, 0x3f116cb1, v79, -v37
	v_fmac_f32_e32 v38, 0xbf52af12, v21
	s_delay_alu instid0(VALU_DEP_4) | instskip(SKIP_2) | instid1(VALU_DEP_4)
	v_fmamk_f32 v77, v79, 0xbf788fa5, v31
	v_mul_f32_e32 v81, 0xbf788fa5, v14
	v_add_f32_e32 v51, v51, v63
	v_dual_add_f32 v37, v37, v39 :: v_dual_add_f32 v38, v38, v61
	s_delay_alu instid0(VALU_DEP_4) | instskip(NEXT) | instid1(VALU_DEP_4)
	v_add_f32_e32 v39, v77, v66
	v_fmamk_f32 v61, v21, 0xbe750f2a, v81
	v_mul_f32_e32 v63, 0x3eedf032, v76
	v_fma_f32 v31, 0xbf788fa5, v79, -v31
	v_mul_f32_e32 v66, 0x3f62ad3f, v14
	s_delay_alu instid0(VALU_DEP_4) | instskip(NEXT) | instid1(VALU_DEP_4)
	v_dual_mul_f32 v76, 0xbf6f5d39, v76 :: v_dual_add_f32 v61, v61, v67
	v_fmamk_f32 v67, v79, 0x3f62ad3f, v63
	s_delay_alu instid0(VALU_DEP_3) | instskip(SKIP_2) | instid1(VALU_DEP_4)
	v_dual_add_f32 v31, v31, v62 :: v_dual_fmamk_f32 v62, v21, 0xbeedf032, v66
	v_fma_f32 v63, 0x3f62ad3f, v79, -v63
	v_fmac_f32_e32 v66, 0x3eedf032, v21
	v_dual_add_f32 v67, v67, v73 :: v_dual_mul_f32 v14, 0xbeb58ec6, v14
	s_delay_alu instid0(VALU_DEP_4) | instskip(NEXT) | instid1(VALU_DEP_4)
	v_dual_add_f32 v62, v62, v65 :: v_dual_fmamk_f32 v65, v79, 0xbeb58ec6, v76
	v_dual_add_f32 v63, v63, v68 :: v_dual_sub_f32 v68, v12, v13
	v_add_f32_e32 v12, v12, v13
	v_fmac_f32_e32 v81, 0x3e750f2a, v21
	s_delay_alu instid0(VALU_DEP_4)
	v_add_f32_e32 v65, v65, v71
	v_add_f32_e32 v71, v30, v28
	v_dual_mul_f32 v73, 0xbe750f2a, v68 :: v_dual_add_f32 v66, v66, v69
	v_fmamk_f32 v69, v21, 0x3f6f5d39, v14
	v_fma_f32 v13, 0xbeb58ec6, v79, -v76
	v_dual_fmac_f32 v14, 0xbf6f5d39, v21 :: v_dual_sub_f32 v21, v30, v28
	s_delay_alu instid0(VALU_DEP_4) | instskip(SKIP_3) | instid1(VALU_DEP_4)
	v_fmamk_f32 v28, v71, 0xbf788fa5, v73
	v_mul_f32_e32 v30, 0xbf788fa5, v12
	v_add_f32_e32 v40, v69, v40
	v_add_f32_e32 v1, v13, v1
	v_dual_add_f32 v3, v14, v3 :: v_dual_add_f32 v4, v28, v4
	s_delay_alu instid0(VALU_DEP_4) | instskip(SKIP_3) | instid1(VALU_DEP_4)
	v_fmamk_f32 v13, v21, 0x3e750f2a, v30
	v_mul_f32_e32 v14, 0x3eedf032, v68
	v_fma_f32 v28, 0xbf788fa5, v71, -v73
	v_fmac_f32_e32 v30, 0xbe750f2a, v21
	v_dual_mul_f32 v69, 0x3f62ad3f, v12 :: v_dual_add_f32 v6, v13, v6
	s_delay_alu instid0(VALU_DEP_3) | instskip(NEXT) | instid1(VALU_DEP_3)
	v_dual_fmamk_f32 v13, v71, 0x3f62ad3f, v14 :: v_dual_add_f32 v22, v28, v22
	v_add_f32_e32 v30, v30, v29
	s_delay_alu instid0(VALU_DEP_3)
	v_fmamk_f32 v28, v21, 0xbeedf032, v69
	v_mul_f32_e32 v29, 0xbf29c268, v68
	v_fma_f32 v14, 0x3f62ad3f, v71, -v14
	v_add_f32_e32 v13, v13, v15
	v_fmac_f32_e32 v69, 0x3eedf032, v21
	v_add_f32_e32 v15, v28, v23
	v_dual_fmamk_f32 v23, v71, 0xbf3f9e67, v29 :: v_dual_mul_f32 v28, 0xbf3f9e67, v12
	v_add_f32_e32 v14, v14, v18
	v_mul_f32_e32 v18, 0x3f52af12, v68
	v_add_f32_e32 v20, v69, v20
	s_delay_alu instid0(VALU_DEP_4) | instskip(SKIP_3) | instid1(VALU_DEP_4)
	v_dual_add_f32 v23, v23, v36 :: v_dual_fmamk_f32 v36, v21, 0x3f29c268, v28
	v_fma_f32 v29, 0xbf3f9e67, v71, -v29
	v_fmac_f32_e32 v28, 0xbf29c268, v21
	v_fmamk_f32 v69, v71, 0x3f116cb1, v18
	v_dual_mul_f32 v73, 0x3f116cb1, v12 :: v_dual_add_f32 v36, v36, v51
	s_delay_alu instid0(VALU_DEP_4) | instskip(NEXT) | instid1(VALU_DEP_3)
	v_add_f32_e32 v29, v29, v37
	v_dual_add_f32 v37, v28, v38 :: v_dual_add_f32 v28, v69, v39
	s_delay_alu instid0(VALU_DEP_3) | instskip(SKIP_4) | instid1(VALU_DEP_4)
	v_fmamk_f32 v38, v21, 0xbf52af12, v73
	v_mul_f32_e32 v39, 0xbf6f5d39, v68
	v_mul_f32_e32 v51, 0xbeb58ec6, v12
	;; [unrolled: 1-line block ×4, first 2 shown]
	v_dual_add_f32 v38, v38, v61 :: v_dual_fmamk_f32 v61, v71, 0xbeb58ec6, v39
	s_delay_alu instid0(VALU_DEP_4)
	v_fmamk_f32 v69, v21, 0x3f6f5d39, v51
	v_fma_f32 v39, 0xbeb58ec6, v71, -v39
	v_fmac_f32_e32 v51, 0xbf6f5d39, v21
	v_fmac_f32_e32 v73, 0x3f52af12, v21
	v_add_f32_e32 v61, v61, v67
	v_dual_fmamk_f32 v67, v71, 0x3df6dbef, v68 :: v_dual_add_f32 v62, v69, v62
	v_lshrrev_b32_e32 v69, 1, v90
	v_add_f32_e32 v39, v39, v63
	v_add_f32_e32 v51, v51, v66
	s_delay_alu instid0(VALU_DEP_4)
	v_add_f32_e32 v63, v67, v65
	v_fmamk_f32 v65, v21, 0xbf7e222b, v12
	v_fmac_f32_e32 v12, 0x3f7e222b, v21
	v_lshrrev_b32_e32 v21, 1, v34
	v_mul_u32_u24_e32 v66, 26, v69
	v_fma_f32 v18, 0x3f116cb1, v71, -v18
	v_add_f32_e32 v40, v65, v40
	v_add_f32_e32 v12, v12, v3
	v_mul_u32_u24_e32 v3, 26, v21
	v_or_b32_e32 v65, v66, v35
	v_fma_f32 v67, 0x3df6dbef, v71, -v68
	v_add_f32_e32 v80, v84, v80
	v_add_f32_e32 v18, v18, v31
	v_or_b32_e32 v3, v3, v35
	v_lshl_add_u32 v65, v65, 2, 0
	v_add_f32_e32 v1, v67, v1
	v_add_f32_e32 v77, v81, v80
	ds_store_2addr_b32 v65, v0, v19 offset1:2
	ds_store_2addr_b32 v65, v44, v46 offset0:4 offset1:6
	ds_store_2addr_b32 v65, v53, v58 offset0:8 offset1:10
	v_lshl_add_u32 v35, v3, 2, 0
	ds_store_2addr_b32 v65, v59, v60 offset0:12 offset1:14
	ds_store_2addr_b32 v65, v55, v54 offset0:16 offset1:18
	;; [unrolled: 1-line block ×3, first 2 shown]
	ds_store_b32 v65, v43 offset:96
	ds_store_2addr_b32 v35, v47, v4 offset1:2
	ds_store_2addr_b32 v35, v13, v23 offset0:4 offset1:6
	ds_store_2addr_b32 v35, v28, v61 offset0:8 offset1:10
	;; [unrolled: 1-line block ×5, first 2 shown]
	ds_store_b32 v35, v22 offset:96
	global_wb scope:SCOPE_SE
	s_wait_dscnt 0x0
	s_barrier_signal -1
	s_barrier_wait -1
	global_inv scope:SCOPE_SE
	ds_load_2addr_b32 v[0:1], v57 offset1:52
	ds_load_2addr_b32 v[18:19], v57 offset0:104 offset1:156
	ds_load_2addr_b32 v[21:22], v70 offset0:80 offset1:132
	;; [unrolled: 1-line block ×12, first 2 shown]
	global_wb scope:SCOPE_SE
	s_wait_dscnt 0x0
	s_barrier_signal -1
	s_barrier_wait -1
	global_inv scope:SCOPE_SE
	ds_store_2addr_b32 v65, v2, v11 offset1:2
	ds_store_2addr_b32 v65, v17, v42 offset0:4 offset1:6
	ds_store_2addr_b32 v65, v49, v52 offset0:8 offset1:10
	v_subrev_nc_u32_e32 v91, 26, v90
	v_and_b32_e32 v2, 0xff, v34
	ds_store_2addr_b32 v65, v50, v41 offset0:12 offset1:14
	ds_store_2addr_b32 v65, v10, v9 offset0:16 offset1:18
	;; [unrolled: 1-line block ×3, first 2 shown]
	ds_store_b32 v65, v5 offset:96
	ds_store_2addr_b32 v35, v16, v6 offset1:2
	ds_store_2addr_b32 v35, v15, v36 offset0:4 offset1:6
	s_wait_alu 0xf1ff
	v_cndmask_b32_e64 v28, v91, v90, s0
	v_mul_lo_u16 v3, 0x4f, v2
	v_add_f32_e32 v31, v73, v77
	ds_store_2addr_b32 v35, v38, v62 offset0:8 offset1:10
	ds_store_2addr_b32 v35, v40, v12 offset0:12 offset1:14
	;; [unrolled: 1-line block ×3, first 2 shown]
	v_mul_i32_i24_e32 v2, 12, v28
	v_lshrrev_b16 v29, 11, v3
	v_mov_b32_e32 v3, 0
	ds_store_2addr_b32 v35, v37, v20 offset0:20 offset1:22
	ds_store_b32 v35, v30 offset:96
	global_wb scope:SCOPE_SE
	s_wait_dscnt 0x0
	s_barrier_signal -1
	v_mul_lo_u16 v4, v29, 26
	v_lshlrev_b64_e32 v[2:3], 3, v[2:3]
	s_barrier_wait -1
	global_inv scope:SCOPE_SE
	v_and_b32_e32 v29, 0xffff, v29
	v_sub_nc_u16 v4, v34, v4
	v_lshlrev_b32_e32 v28, 2, v28
	v_add_co_u32 v15, s1, s4, v2
	s_wait_alu 0xf1ff
	v_add_co_ci_u32_e64 v16, s1, s5, v3, s1
	v_and_b32_e32 v30, 0xff, v4
	v_cmp_lt_u32_e64 s1, 25, v90
	s_clause 0x1
	global_load_b128 v[2:5], v[15:16], off offset:192
	global_load_b128 v[6:9], v[15:16], off offset:208
	v_mul_u32_u24_e32 v10, 12, v30
	s_delay_alu instid0(VALU_DEP_1)
	v_lshlrev_b32_e32 v10, 3, v10
	s_clause 0x9
	global_load_b128 v[11:14], v10, s[4:5] offset:192
	global_load_b128 v[34:37], v10, s[4:5] offset:208
	global_load_b128 v[38:41], v[15:16], off offset:224
	global_load_b128 v[42:45], v10, s[4:5] offset:224
	global_load_b128 v[46:49], v[15:16], off offset:240
	global_load_b128 v[84:87], v[15:16], off offset:256
	;; [unrolled: 1-line block ×3, first 2 shown]
	global_load_b128 v[96:99], v10, s[4:5] offset:240
	global_load_b128 v[100:103], v10, s[4:5] offset:256
	global_load_b128 v[104:107], v10, s[4:5] offset:272
	ds_load_2addr_b32 v[16:17], v57 offset0:104 offset1:156
	ds_load_2addr_b32 v[50:51], v70 offset0:80 offset1:132
	;; [unrolled: 1-line block ×5, first 2 shown]
	s_wait_loadcnt_dscnt 0xb04
	v_mul_f32_e32 v82, v16, v3
	v_mul_f32_e32 v3, v18, v3
	s_wait_dscnt 0x3
	v_mul_f32_e32 v77, v50, v5
	v_mul_f32_e32 v5, v21, v5
	s_wait_loadcnt_dscnt 0xa02
	v_dual_mul_f32 v67, v60, v7 :: v_dual_fmac_f32 v82, v18, v2
	v_fma_f32 v83, v16, v2, -v3
	v_mul_f32_e32 v2, v53, v7
	v_fmac_f32_e32 v77, v21, v4
	v_fma_f32 v79, v50, v4, -v5
	v_fmac_f32_e32 v67, v53, v6
	ds_load_2addr_b32 v[4:5], v72 offset0:112 offset1:164
	v_fma_f32 v68, v60, v6, -v2
	ds_load_2addr_b32 v[2:3], v72 offset0:8 offset1:60
	s_wait_loadcnt 0x9
	v_mul_f32_e32 v6, v19, v12
	s_wait_dscnt 0x3
	v_mul_f32_e32 v62, v120, v9
	v_dual_mul_f32 v7, v58, v9 :: v_dual_mul_f32 v20, v17, v12
	v_mul_f32_e32 v16, v51, v14
	v_fma_f32 v21, v17, v11, -v6
	v_mul_f32_e32 v6, v22, v14
	v_fmac_f32_e32 v62, v58, v8
	v_fma_f32 v66, v120, v8, -v7
	v_fmac_f32_e32 v20, v19, v11
	s_wait_loadcnt 0x8
	v_dual_mul_f32 v7, v54, v35 :: v_dual_mul_f32 v8, v121, v37
	v_fma_f32 v17, v51, v13, -v6
	v_mul_f32_e32 v6, v59, v37
	ds_load_2addr_b32 v[18:19], v74 offset0:64 offset1:116
	v_fmac_f32_e32 v16, v22, v13
	v_mul_f32_e32 v12, v61, v35
	v_fma_f32 v13, v61, v34, -v7
	v_fmac_f32_e32 v8, v59, v36
	v_fma_f32 v10, v121, v36, -v6
	s_wait_loadcnt 0x7
	v_mul_f32_e32 v6, v80, v39
	v_mul_f32_e32 v7, v88, v41
	s_wait_loadcnt 0x6
	v_mul_f32_e32 v9, v81, v43
	ds_load_2addr_b32 v[35:36], v75 offset0:16 offset1:68
	v_fmac_f32_e32 v12, v54, v34
	ds_load_2addr_b32 v[14:15], v33 offset0:88 offset1:140
	s_wait_dscnt 0x3
	v_mul_f32_e32 v60, v2, v39
	v_fma_f32 v61, v2, v38, -v6
	v_mul_f32_e32 v6, v3, v43
	ds_load_2addr_b32 v[33:34], v74 offset0:168 offset1:220
	v_fma_f32 v53, v4, v40, -v7
	v_fma_f32 v7, v3, v42, -v9
	v_dual_mul_f32 v3, v89, v45 :: v_dual_fmac_f32 v60, v80, v38
	v_mul_f32_e32 v2, v5, v45
	ds_load_2addr_b32 v[37:38], v75 offset0:120 offset1:172
	v_mul_f32_e32 v23, v4, v41
	v_fma_f32 v3, v5, v44, -v3
	s_wait_loadcnt 0x5
	v_dual_mul_f32 v5, v110, v49 :: v_dual_mul_f32 v4, v108, v47
	v_fmac_f32_e32 v6, v81, v42
	s_wait_loadcnt 0x2
	v_mul_f32_e32 v11, v109, v97
	v_fmac_f32_e32 v2, v89, v44
	s_wait_dscnt 0x4
	v_fma_f32 v65, v18, v48, -v5
	v_mul_f32_e32 v5, v114, v87
	s_wait_dscnt 0x2
	v_fma_f32 v55, v14, v46, -v4
	v_mul_f32_e32 v4, v112, v85
	s_wait_loadcnt 0x1
	v_mul_f32_e32 v22, v115, v103
	v_mul_f32_e32 v54, v14, v47
	v_fma_f32 v76, v35, v86, -v5
	v_mul_f32_e32 v5, v118, v95
	s_wait_dscnt 0x1
	v_mul_f32_e32 v69, v33, v85
	v_mul_f32_e32 v85, v31, v95
	v_fma_f32 v71, v33, v84, -v4
	v_mul_f32_e32 v4, v116, v93
	v_fma_f32 v81, v31, v94, -v5
	s_wait_loadcnt 0x0
	v_mul_f32_e32 v31, v117, v105
	v_fma_f32 v5, v15, v96, -v11
	v_fmac_f32_e32 v69, v112, v84
	s_wait_dscnt 0x0
	v_fma_f32 v80, v37, v92, -v4
	v_mul_f32_e32 v4, v15, v97
	v_fma_f32 v52, v38, v104, -v31
	v_dual_mul_f32 v84, v37, v93 :: v_dual_fmac_f32 v85, v118, v94
	v_mul_f32_e32 v15, v113, v101
	s_delay_alu instid0(VALU_DEP_4) | instskip(NEXT) | instid1(VALU_DEP_4)
	v_fmac_f32_e32 v4, v109, v96
	v_sub_f32_e32 v89, v17, v52
	v_mul_f32_e32 v11, v111, v99
	v_mul_f32_e32 v9, v19, v99
	v_dual_mul_f32 v73, v35, v87 :: v_dual_mul_f32 v14, v34, v101
	s_delay_alu instid0(VALU_DEP_4) | instskip(NEXT) | instid1(VALU_DEP_4)
	v_mul_f32_e32 v96, 0xbf6f5d39, v89
	v_fma_f32 v11, v19, v98, -v11
	v_fma_f32 v19, v36, v102, -v22
	v_mul_f32_e32 v22, v38, v105
	v_fma_f32 v15, v34, v100, -v15
	v_add_f32_e32 v34, v82, v85
	v_dual_mul_f32 v63, v18, v49 :: v_dual_mul_f32 v18, v36, v103
	s_delay_alu instid0(VALU_DEP_4)
	v_fmac_f32_e32 v22, v117, v104
	v_mul_f32_e32 v36, v119, v107
	v_fmac_f32_e32 v84, v116, v92
	v_mul_f32_e32 v59, v32, v107
	v_sub_f32_e32 v43, v79, v80
	v_add_f32_e32 v93, v16, v22
	v_sub_f32_e32 v33, v83, v81
	v_fma_f32 v58, v32, v106, -v36
	v_fmac_f32_e32 v23, v88, v40
	v_dual_fmac_f32 v54, v108, v46 :: v_dual_add_f32 v45, v77, v84
	s_delay_alu instid0(VALU_DEP_4)
	v_mul_f32_e32 v35, 0xbeedf032, v33
	v_mul_f32_e32 v38, 0xbf52af12, v33
	;; [unrolled: 1-line block ×5, first 2 shown]
	v_fmamk_f32 v37, v34, 0x3f62ad3f, v35
	v_fma_f32 v32, 0x3f62ad3f, v34, -v35
	v_fmamk_f32 v36, v34, 0x3f116cb1, v38
	v_fma_f32 v38, 0x3f116cb1, v34, -v38
	v_fmamk_f32 v41, v34, 0xbeb58ec6, v39
	v_add_f32_e32 v35, v0, v37
	v_mul_f32_e32 v37, 0xbf7e222b, v33
	v_mul_f32_e32 v33, 0xbe750f2a, v33
	v_fma_f32 v39, 0xbeb58ec6, v34, -v39
	v_fmamk_f32 v44, v34, 0xbf3f9e67, v42
	v_fma_f32 v42, 0xbf3f9e67, v34, -v42
	v_fmamk_f32 v40, v34, 0x3df6dbef, v37
	;; [unrolled: 2-line block ×3, first 2 shown]
	v_fma_f32 v33, 0xbf788fa5, v34, -v33
	v_fmac_f32_e32 v63, v110, v48
	v_add_f32_e32 v31, v0, v82
	v_add_f32_e32 v32, v0, v32
	;; [unrolled: 1-line block ×10, first 2 shown]
	v_fmamk_f32 v42, v45, 0x3f116cb1, v46
	v_mul_f32_e32 v48, 0xbf6f5d39, v43
	v_add_f32_e32 v47, v0, v47
	v_add_f32_e32 v0, v0, v33
	v_fma_f32 v33, 0x3f116cb1, v45, -v46
	s_delay_alu instid0(VALU_DEP_4) | instskip(SKIP_2) | instid1(VALU_DEP_4)
	v_dual_add_f32 v35, v42, v35 :: v_dual_fmamk_f32 v42, v45, 0xbeb58ec6, v48
	v_mul_f32_e32 v46, 0xbe750f2a, v43
	v_fma_f32 v48, 0xbeb58ec6, v45, -v48
	v_dual_add_f32 v32, v33, v32 :: v_dual_mul_f32 v33, 0x3f29c268, v43
	s_delay_alu instid0(VALU_DEP_4) | instskip(NEXT) | instid1(VALU_DEP_4)
	v_add_f32_e32 v36, v42, v36
	v_fmamk_f32 v42, v45, 0xbf788fa5, v46
	s_delay_alu instid0(VALU_DEP_4)
	v_add_f32_e32 v38, v48, v38
	v_fmac_f32_e32 v73, v114, v86
	v_fmamk_f32 v48, v45, 0xbf3f9e67, v33
	v_fma_f32 v33, 0xbf3f9e67, v45, -v33
	v_fma_f32 v46, 0xbf788fa5, v45, -v46
	v_add_f32_e32 v40, v42, v40
	s_delay_alu instid0(VALU_DEP_4) | instskip(NEXT) | instid1(VALU_DEP_4)
	v_dual_mul_f32 v42, 0x3f7e222b, v43 :: v_dual_add_f32 v41, v48, v41
	v_add_f32_e32 v33, v33, v39
	v_sub_f32_e32 v39, v68, v76
	s_delay_alu instid0(VALU_DEP_3) | instskip(SKIP_2) | instid1(VALU_DEP_4)
	v_dual_add_f32 v37, v46, v37 :: v_dual_fmamk_f32 v46, v45, 0x3df6dbef, v42
	v_mul_f32_e32 v43, 0x3eedf032, v43
	v_fma_f32 v42, 0x3df6dbef, v45, -v42
	v_dual_add_f32 v48, v67, v73 :: v_dual_mul_f32 v49, 0xbf7e222b, v39
	s_delay_alu instid0(VALU_DEP_4) | instskip(NEXT) | instid1(VALU_DEP_4)
	v_add_f32_e32 v44, v46, v44
	v_fmamk_f32 v46, v45, 0x3f62ad3f, v43
	v_fma_f32 v43, 0x3f62ad3f, v45, -v43
	v_add_f32_e32 v34, v42, v34
	v_fmamk_f32 v42, v48, 0x3df6dbef, v49
	v_mul_f32_e32 v45, 0xbe750f2a, v39
	v_add_f32_e32 v46, v46, v47
	v_add_f32_e32 v0, v43, v0
	v_fma_f32 v43, 0x3df6dbef, v48, -v49
	s_delay_alu instid0(VALU_DEP_4) | instskip(SKIP_2) | instid1(VALU_DEP_4)
	v_dual_add_f32 v35, v42, v35 :: v_dual_fmamk_f32 v42, v48, 0xbf788fa5, v45
	v_mul_f32_e32 v47, 0x3f6f5d39, v39
	v_fma_f32 v45, 0xbf788fa5, v48, -v45
	v_dual_add_f32 v32, v43, v32 :: v_dual_mul_f32 v43, 0x3eedf032, v39
	s_delay_alu instid0(VALU_DEP_4) | instskip(NEXT) | instid1(VALU_DEP_4)
	v_add_f32_e32 v36, v42, v36
	v_fmamk_f32 v42, v48, 0xbeb58ec6, v47
	s_delay_alu instid0(VALU_DEP_4) | instskip(SKIP_4) | instid1(VALU_DEP_4)
	v_add_f32_e32 v38, v45, v38
	v_fma_f32 v45, 0xbeb58ec6, v48, -v47
	v_fmamk_f32 v47, v48, 0x3f62ad3f, v43
	v_fma_f32 v43, 0x3f62ad3f, v48, -v43
	v_add_f32_e32 v40, v42, v40
	v_dual_mul_f32 v42, 0xbf52af12, v39 :: v_dual_add_f32 v37, v45, v37
	v_mul_f32_e32 v39, 0xbf29c268, v39
	s_delay_alu instid0(VALU_DEP_4) | instskip(SKIP_1) | instid1(VALU_DEP_4)
	v_add_f32_e32 v33, v43, v33
	v_sub_f32_e32 v43, v66, v71
	v_fmamk_f32 v45, v48, 0x3f116cb1, v42
	v_add_f32_e32 v41, v47, v41
	v_fma_f32 v42, 0x3f116cb1, v48, -v42
	v_add_f32_e32 v47, v62, v69
	s_delay_alu instid0(VALU_DEP_4) | instskip(SKIP_3) | instid1(VALU_DEP_4)
	v_dual_mul_f32 v49, 0xbf6f5d39, v43 :: v_dual_add_f32 v44, v45, v44
	v_fmamk_f32 v45, v48, 0xbf3f9e67, v39
	v_fma_f32 v39, 0xbf3f9e67, v48, -v39
	v_add_f32_e32 v34, v42, v34
	v_fmamk_f32 v42, v47, 0xbeb58ec6, v49
	s_delay_alu instid0(VALU_DEP_4) | instskip(NEXT) | instid1(VALU_DEP_4)
	v_dual_mul_f32 v48, 0x3f29c268, v43 :: v_dual_add_f32 v45, v45, v46
	v_add_f32_e32 v0, v39, v0
	v_fma_f32 v39, 0xbeb58ec6, v47, -v49
	s_delay_alu instid0(VALU_DEP_3) | instskip(SKIP_2) | instid1(VALU_DEP_4)
	v_dual_add_f32 v35, v42, v35 :: v_dual_fmamk_f32 v42, v47, 0xbf3f9e67, v48
	v_mul_f32_e32 v46, 0x3eedf032, v43
	v_fma_f32 v48, 0xbf3f9e67, v47, -v48
	v_dual_add_f32 v32, v39, v32 :: v_dual_mul_f32 v39, 0xbf7e222b, v43
	s_delay_alu instid0(VALU_DEP_4) | instskip(NEXT) | instid1(VALU_DEP_4)
	v_add_f32_e32 v36, v42, v36
	v_fmamk_f32 v42, v47, 0x3f62ad3f, v46
	s_delay_alu instid0(VALU_DEP_4) | instskip(SKIP_4) | instid1(VALU_DEP_4)
	v_add_f32_e32 v38, v48, v38
	v_fma_f32 v46, 0x3f62ad3f, v47, -v46
	v_fmamk_f32 v48, v47, 0x3df6dbef, v39
	v_fma_f32 v39, 0x3df6dbef, v47, -v39
	v_add_f32_e32 v40, v42, v40
	v_dual_mul_f32 v42, 0x3e750f2a, v43 :: v_dual_add_f32 v37, v46, v37
	s_delay_alu instid0(VALU_DEP_4) | instskip(NEXT) | instid1(VALU_DEP_4)
	v_add_f32_e32 v41, v48, v41
	v_add_f32_e32 v33, v39, v33
	s_delay_alu instid0(VALU_DEP_3) | instskip(SKIP_3) | instid1(VALU_DEP_4)
	v_dual_sub_f32 v39, v61, v65 :: v_dual_fmamk_f32 v46, v47, 0xbf788fa5, v42
	v_mul_f32_e32 v43, 0x3f52af12, v43
	v_fma_f32 v42, 0xbf788fa5, v47, -v42
	v_add_f32_e32 v48, v60, v63
	v_dual_mul_f32 v49, 0xbf29c268, v39 :: v_dual_fmac_f32 v14, v113, v100
	v_add_f32_e32 v44, v46, v44
	v_fmamk_f32 v46, v47, 0x3f116cb1, v43
	v_add_f32_e32 v34, v42, v34
	v_fma_f32 v42, 0x3f116cb1, v47, -v43
	v_mul_f32_e32 v47, 0x3f7e222b, v39
	v_dual_mul_f32 v94, 0xbf52af12, v89 :: v_dual_fmac_f32 v9, v111, v98
	v_fmamk_f32 v43, v48, 0xbf3f9e67, v49
	v_add_f32_e32 v45, v46, v45
	v_fma_f32 v46, 0xbf3f9e67, v48, -v49
	v_add_f32_e32 v0, v42, v0
	s_delay_alu instid0(VALU_DEP_4) | instskip(SKIP_1) | instid1(VALU_DEP_4)
	v_dual_fmamk_f32 v42, v48, 0x3df6dbef, v47 :: v_dual_add_f32 v35, v43, v35
	v_dual_mul_f32 v43, 0xbf52af12, v39 :: v_dual_fmac_f32 v18, v115, v102
	v_add_f32_e32 v32, v46, v32
	v_fma_f32 v46, 0x3df6dbef, v48, -v47
	s_delay_alu instid0(VALU_DEP_4) | instskip(NEXT) | instid1(VALU_DEP_4)
	v_dual_mul_f32 v47, 0x3e750f2a, v39 :: v_dual_add_f32 v36, v42, v36
	v_fmamk_f32 v42, v48, 0x3f116cb1, v43
	v_fma_f32 v43, 0x3f116cb1, v48, -v43
	s_delay_alu instid0(VALU_DEP_4) | instskip(NEXT) | instid1(VALU_DEP_4)
	v_add_f32_e32 v38, v46, v38
	v_fmamk_f32 v46, v48, 0xbf788fa5, v47
	v_fma_f32 v47, 0xbf788fa5, v48, -v47
	s_delay_alu instid0(VALU_DEP_4)
	v_dual_add_f32 v40, v42, v40 :: v_dual_add_f32 v37, v43, v37
	v_mul_f32_e32 v42, 0x3eedf032, v39
	v_sub_f32_e32 v43, v53, v55
	v_add_f32_e32 v41, v46, v41
	v_add_f32_e32 v33, v47, v33
	v_mul_f32_e32 v39, 0xbf6f5d39, v39
	v_fmamk_f32 v46, v48, 0x3f62ad3f, v42
	v_fma_f32 v42, 0x3f62ad3f, v48, -v42
	v_add_f32_e32 v47, v23, v54
	v_mul_f32_e32 v49, 0xbe750f2a, v43
	v_fmamk_f32 v50, v48, 0xbeb58ec6, v39
	v_add_f32_e32 v44, v46, v44
	v_add_f32_e32 v34, v42, v34
	v_fma_f32 v39, 0xbeb58ec6, v48, -v39
	v_fmamk_f32 v42, v47, 0xbf788fa5, v49
	v_mul_f32_e32 v46, 0x3eedf032, v43
	v_fma_f32 v48, 0xbf788fa5, v47, -v49
	v_fmac_f32_e32 v59, v119, v106
	s_delay_alu instid0(VALU_DEP_4)
	v_dual_add_f32 v0, v39, v0 :: v_dual_add_f32 v35, v42, v35
	v_mul_f32_e32 v39, 0xbf29c268, v43
	v_fmamk_f32 v42, v47, 0x3f62ad3f, v46
	v_add_f32_e32 v32, v48, v32
	v_mul_f32_e32 v48, 0x3f52af12, v43
	v_fma_f32 v46, 0x3f62ad3f, v47, -v46
	s_delay_alu instid0(VALU_DEP_4) | instskip(SKIP_1) | instid1(VALU_DEP_4)
	v_dual_fmamk_f32 v49, v47, 0xbf3f9e67, v39 :: v_dual_add_f32 v36, v42, v36
	v_fma_f32 v39, 0xbf3f9e67, v47, -v39
	v_fmamk_f32 v42, v47, 0x3f116cb1, v48
	s_delay_alu instid0(VALU_DEP_4)
	v_add_f32_e32 v38, v46, v38
	v_fma_f32 v46, 0x3f116cb1, v47, -v48
	v_add_f32_e32 v45, v50, v45
	v_add_f32_e32 v37, v39, v37
	v_mul_f32_e32 v39, 0xbf6f5d39, v43
	v_dual_add_f32 v41, v42, v41 :: v_dual_mul_f32 v42, 0x3f7e222b, v43
	v_dual_sub_f32 v43, v21, v58 :: v_dual_add_nc_u32 v98, 0xe00, v57
	v_dual_add_f32 v40, v49, v40 :: v_dual_add_f32 v33, v46, v33
	s_delay_alu instid0(VALU_DEP_4)
	v_fmamk_f32 v46, v47, 0xbeb58ec6, v39
	v_fma_f32 v39, 0xbeb58ec6, v47, -v39
	v_dual_fmamk_f32 v48, v47, 0x3df6dbef, v42 :: v_dual_add_f32 v49, v20, v59
	v_mul_f32_e32 v50, 0xbeedf032, v43
	v_fma_f32 v42, 0x3df6dbef, v47, -v42
	v_mul_f32_e32 v88, 0xbf29c268, v43
	s_delay_alu instid0(VALU_DEP_4) | instskip(NEXT) | instid1(VALU_DEP_3)
	v_dual_add_f32 v34, v39, v34 :: v_dual_add_f32 v39, v48, v45
	v_dual_fmamk_f32 v45, v49, 0x3f62ad3f, v50 :: v_dual_add_f32 v42, v42, v0
	v_mul_f32_e32 v0, 0xbf52af12, v43
	v_fma_f32 v47, 0x3f62ad3f, v49, -v50
	v_mul_f32_e32 v48, 0xbf7e222b, v43
	v_mul_f32_e32 v51, 0xbf6f5d39, v43
	;; [unrolled: 1-line block ×3, first 2 shown]
	v_fmamk_f32 v92, v49, 0xbf3f9e67, v88
	v_add_f32_e32 v45, v1, v45
	v_fmamk_f32 v50, v49, 0x3f116cb1, v0
	v_fma_f32 v0, 0x3f116cb1, v49, -v0
	v_add_f32_e32 v47, v1, v47
	v_fmamk_f32 v86, v49, 0x3df6dbef, v48
	v_fma_f32 v48, 0x3df6dbef, v49, -v48
	v_fmamk_f32 v87, v49, 0xbeb58ec6, v51
	v_fma_f32 v51, 0xbeb58ec6, v49, -v51
	v_fma_f32 v88, 0xbf3f9e67, v49, -v88
	v_fmamk_f32 v95, v49, 0xbf788fa5, v43
	v_fma_f32 v43, 0xbf788fa5, v49, -v43
	v_add_f32_e32 v49, v1, v92
	v_fmamk_f32 v92, v93, 0x3f116cb1, v94
	v_fma_f32 v94, 0x3f116cb1, v93, -v94
	v_add_f32_e32 v44, v46, v44
	v_add_f32_e32 v46, v1, v20
	;; [unrolled: 1-line block ×12, first 2 shown]
	v_fmamk_f32 v45, v93, 0xbeb58ec6, v96
	v_dual_mul_f32 v92, 0xbe750f2a, v89 :: v_dual_add_f32 v47, v94, v47
	v_mul_f32_e32 v94, 0x3f29c268, v89
	v_fma_f32 v96, 0xbeb58ec6, v93, -v96
	s_delay_alu instid0(VALU_DEP_4) | instskip(NEXT) | instid1(VALU_DEP_4)
	v_add_f32_e32 v45, v45, v50
	v_fmamk_f32 v50, v93, 0xbf788fa5, v92
	v_fma_f32 v92, 0xbf788fa5, v93, -v92
	s_delay_alu instid0(VALU_DEP_4) | instskip(SKIP_1) | instid1(VALU_DEP_4)
	v_dual_fmamk_f32 v97, v93, 0xbf3f9e67, v94 :: v_dual_add_f32 v0, v96, v0
	v_mul_f32_e32 v96, 0x3f7e222b, v89
	v_add_f32_e32 v50, v50, v86
	s_delay_alu instid0(VALU_DEP_4) | instskip(NEXT) | instid1(VALU_DEP_4)
	v_add_f32_e32 v48, v92, v48
	v_add_f32_e32 v86, v97, v87
	v_fma_f32 v87, 0xbf3f9e67, v93, -v94
	v_sub_f32_e32 v94, v13, v19
	v_fmamk_f32 v92, v93, 0x3df6dbef, v96
	v_fma_f32 v96, 0x3df6dbef, v93, -v96
	v_mul_f32_e32 v89, 0x3eedf032, v89
	v_add_f32_e32 v51, v87, v51
	v_add_f32_e32 v87, v12, v18
	v_mul_f32_e32 v97, 0xbf7e222b, v94
	s_delay_alu instid0(VALU_DEP_4) | instskip(SKIP_2) | instid1(VALU_DEP_4)
	v_dual_add_f32 v49, v92, v49 :: v_dual_fmamk_f32 v92, v93, 0x3f62ad3f, v89
	v_add_f32_e32 v88, v96, v88
	v_fma_f32 v89, 0x3f62ad3f, v93, -v89
	v_fmamk_f32 v93, v87, 0x3df6dbef, v97
	v_mul_f32_e32 v96, 0xbe750f2a, v94
	v_add_f32_e32 v92, v92, v95
	v_fma_f32 v95, 0x3df6dbef, v87, -v97
	v_add_f32_e32 v1, v89, v1
	v_add_f32_e32 v43, v93, v43
	v_fmamk_f32 v89, v87, 0xbf788fa5, v96
	v_mul_f32_e32 v93, 0x3f6f5d39, v94
	v_add_f32_e32 v47, v95, v47
	v_mul_f32_e32 v95, 0x3eedf032, v94
	v_fma_f32 v96, 0xbf788fa5, v87, -v96
	v_add_f32_e32 v45, v89, v45
	v_fmamk_f32 v89, v87, 0xbeb58ec6, v93
	v_fma_f32 v93, 0xbeb58ec6, v87, -v93
	s_delay_alu instid0(VALU_DEP_4) | instskip(SKIP_1) | instid1(VALU_DEP_4)
	v_dual_fmamk_f32 v97, v87, 0x3f62ad3f, v95 :: v_dual_add_f32 v0, v96, v0
	v_mul_f32_e32 v96, 0xbf52af12, v94
	v_add_f32_e32 v50, v89, v50
	v_fma_f32 v89, 0x3f62ad3f, v87, -v95
	v_dual_sub_f32 v95, v10, v15 :: v_dual_add_f32 v48, v93, v48
	s_delay_alu instid0(VALU_DEP_4) | instskip(SKIP_1) | instid1(VALU_DEP_4)
	v_dual_add_f32 v86, v97, v86 :: v_dual_fmamk_f32 v93, v87, 0x3f116cb1, v96
	v_fma_f32 v96, 0x3f116cb1, v87, -v96
	v_dual_mul_f32 v94, 0xbf29c268, v94 :: v_dual_add_f32 v51, v89, v51
	v_add_f32_e32 v89, v8, v14
	v_mul_f32_e32 v97, 0xbf6f5d39, v95
	v_add_f32_e32 v49, v93, v49
	s_delay_alu instid0(VALU_DEP_4) | instskip(SKIP_1) | instid1(VALU_DEP_4)
	v_dual_fmamk_f32 v93, v87, 0xbf3f9e67, v94 :: v_dual_add_f32 v88, v96, v88
	v_fma_f32 v87, 0xbf3f9e67, v87, -v94
	v_fmamk_f32 v94, v89, 0xbeb58ec6, v97
	v_mul_f32_e32 v96, 0x3f29c268, v95
	s_delay_alu instid0(VALU_DEP_4)
	v_add_f32_e32 v92, v93, v92
	v_fma_f32 v93, 0xbeb58ec6, v89, -v97
	v_add_f32_e32 v1, v87, v1
	v_add_f32_e32 v43, v94, v43
	v_fmamk_f32 v87, v89, 0xbf3f9e67, v96
	v_mul_f32_e32 v94, 0x3eedf032, v95
	v_fma_f32 v96, 0xbf3f9e67, v89, -v96
	v_add_f32_e32 v47, v93, v47
	v_mul_f32_e32 v93, 0xbf7e222b, v95
	v_add_f32_e32 v45, v87, v45
	v_fmamk_f32 v87, v89, 0x3f62ad3f, v94
	v_fma_f32 v94, 0x3f62ad3f, v89, -v94
	v_add_f32_e32 v0, v96, v0
	v_mul_f32_e32 v96, 0x3e750f2a, v95
	s_delay_alu instid0(VALU_DEP_4) | instskip(NEXT) | instid1(VALU_DEP_4)
	v_dual_fmamk_f32 v97, v89, 0x3df6dbef, v93 :: v_dual_add_f32 v50, v87, v50
	v_add_f32_e32 v48, v94, v48
	v_fma_f32 v87, 0x3df6dbef, v89, -v93
	s_delay_alu instid0(VALU_DEP_4)
	v_fmamk_f32 v93, v89, 0xbf788fa5, v96
	v_mul_f32_e32 v94, 0x3f52af12, v95
	v_fma_f32 v95, 0xbf788fa5, v89, -v96
	v_sub_f32_e32 v96, v7, v11
	v_dual_add_f32 v86, v97, v86 :: v_dual_add_f32 v51, v87, v51
	v_add_f32_e32 v49, v93, v49
	v_fmamk_f32 v87, v89, 0x3f116cb1, v94
	v_add_f32_e32 v93, v6, v9
	v_mul_f32_e32 v97, 0xbf29c268, v96
	v_add_f32_e32 v88, v95, v88
	v_fma_f32 v89, 0x3f116cb1, v89, -v94
	v_add_f32_e32 v87, v87, v92
	v_mul_f32_e32 v95, 0x3f7e222b, v96
	v_fmamk_f32 v92, v93, 0xbf3f9e67, v97
	v_fma_f32 v94, 0xbf3f9e67, v93, -v97
	v_add_f32_e32 v1, v89, v1
	v_add_f32_e32 v31, v31, v77
	v_fmamk_f32 v89, v93, 0x3df6dbef, v95
	v_add_f32_e32 v43, v92, v43
	v_add_f32_e32 v47, v94, v47
	v_fma_f32 v92, 0x3df6dbef, v93, -v95
	s_delay_alu instid0(VALU_DEP_4) | instskip(SKIP_2) | instid1(VALU_DEP_3)
	v_dual_mul_f32 v94, 0xbf52af12, v96 :: v_dual_add_f32 v45, v89, v45
	v_mul_f32_e32 v95, 0xbf6f5d39, v96
	v_add_f32_e32 v46, v46, v16
	v_dual_add_f32 v0, v92, v0 :: v_dual_fmamk_f32 v89, v93, 0x3f116cb1, v94
	v_mul_f32_e32 v92, 0x3e750f2a, v96
	v_fma_f32 v94, 0x3f116cb1, v93, -v94
	s_delay_alu instid0(VALU_DEP_4) | instskip(NEXT) | instid1(VALU_DEP_4)
	v_dual_add_f32 v31, v31, v67 :: v_dual_add_f32 v46, v46, v12
	v_add_f32_e32 v50, v89, v50
	s_delay_alu instid0(VALU_DEP_3) | instskip(NEXT) | instid1(VALU_DEP_3)
	v_dual_fmamk_f32 v89, v93, 0xbf788fa5, v92 :: v_dual_add_f32 v48, v94, v48
	v_dual_mul_f32 v94, 0x3eedf032, v96 :: v_dual_add_f32 v31, v31, v62
	s_delay_alu instid0(VALU_DEP_4) | instskip(NEXT) | instid1(VALU_DEP_3)
	v_add_f32_e32 v46, v46, v8
	v_add_f32_e32 v86, v89, v86
	v_fma_f32 v89, 0xbf788fa5, v93, -v92
	s_delay_alu instid0(VALU_DEP_4) | instskip(SKIP_2) | instid1(VALU_DEP_4)
	v_fmamk_f32 v92, v93, 0x3f62ad3f, v94
	v_fma_f32 v94, 0x3f62ad3f, v93, -v94
	v_dual_add_f32 v31, v31, v60 :: v_dual_add_f32 v46, v46, v6
	v_add_f32_e32 v51, v89, v51
	v_sub_f32_e32 v89, v3, v5
	s_delay_alu instid0(VALU_DEP_4) | instskip(SKIP_2) | instid1(VALU_DEP_4)
	v_dual_add_f32 v49, v92, v49 :: v_dual_add_f32 v88, v94, v88
	v_fmamk_f32 v92, v93, 0xbeb58ec6, v95
	v_fma_f32 v93, 0xbeb58ec6, v93, -v95
	v_dual_add_f32 v94, v2, v4 :: v_dual_mul_f32 v95, 0xbe750f2a, v89
	v_add_f32_e32 v31, v31, v23
	s_delay_alu instid0(VALU_DEP_3) | instskip(SKIP_1) | instid1(VALU_DEP_4)
	v_dual_add_f32 v87, v92, v87 :: v_dual_add_f32 v96, v93, v1
	v_add_f32_e32 v46, v46, v2
	v_fmamk_f32 v1, v94, 0xbf788fa5, v95
	v_fma_f32 v92, 0xbf788fa5, v94, -v95
	v_mul_f32_e32 v95, 0x3eedf032, v89
	s_delay_alu instid0(VALU_DEP_4) | instskip(NEXT) | instid1(VALU_DEP_4)
	v_dual_add_f32 v31, v31, v54 :: v_dual_add_f32 v46, v46, v4
	v_add_f32_e32 v43, v1, v43
	s_delay_alu instid0(VALU_DEP_4) | instskip(NEXT) | instid1(VALU_DEP_4)
	v_add_f32_e32 v93, v92, v47
	v_fmamk_f32 v1, v94, 0x3f62ad3f, v95
	v_fma_f32 v47, 0x3f62ad3f, v94, -v95
	v_mul_f32_e32 v95, 0xbf29c268, v89
	v_dual_add_f32 v31, v31, v63 :: v_dual_add_f32 v46, v46, v9
	s_delay_alu instid0(VALU_DEP_3) | instskip(NEXT) | instid1(VALU_DEP_3)
	v_dual_add_f32 v45, v1, v45 :: v_dual_add_f32 v92, v47, v0
	v_fmamk_f32 v0, v94, 0xbf3f9e67, v95
	v_mul_f32_e32 v1, 0x3f52af12, v89
	v_fma_f32 v47, 0xbf3f9e67, v94, -v95
	v_dual_add_f32 v31, v31, v69 :: v_dual_add_f32 v46, v46, v14
	s_delay_alu instid0(VALU_DEP_4) | instskip(NEXT) | instid1(VALU_DEP_3)
	v_add_f32_e32 v50, v0, v50
	v_dual_fmamk_f32 v0, v94, 0x3f116cb1, v1 :: v_dual_add_f32 v47, v47, v48
	v_mul_f32_e32 v48, 0xbf6f5d39, v89
	s_delay_alu instid0(VALU_DEP_4) | instskip(NEXT) | instid1(VALU_DEP_3)
	v_dual_add_f32 v31, v31, v73 :: v_dual_add_f32 v46, v46, v18
	v_add_f32_e32 v95, v0, v86
	v_fma_f32 v0, 0x3f116cb1, v94, -v1
	s_delay_alu instid0(VALU_DEP_4) | instskip(SKIP_2) | instid1(VALU_DEP_3)
	v_fmamk_f32 v1, v94, 0xbeb58ec6, v48
	v_fma_f32 v48, 0xbeb58ec6, v94, -v48
	v_dual_mul_f32 v86, 0x3f7e222b, v89 :: v_dual_add_f32 v31, v31, v84
	v_dual_add_f32 v46, v46, v22 :: v_dual_add_f32 v49, v1, v49
	s_delay_alu instid0(VALU_DEP_3) | instskip(NEXT) | instid1(VALU_DEP_3)
	v_add_f32_e32 v48, v48, v88
	v_fmamk_f32 v88, v94, 0x3df6dbef, v86
	v_fma_f32 v86, 0x3df6dbef, v94, -v86
	v_add_f32_e32 v31, v31, v85
	v_add_f32_e32 v51, v0, v51
	v_add_f32_e32 v46, v46, v59
	v_add_f32_e32 v94, v88, v87
	s_wait_alu 0xf1ff
	v_cndmask_b32_e64 v87, 0, 0x548, s1
	v_add_f32_e32 v96, v86, v96
	ds_load_2addr_b32 v[0:1], v57 offset1:52
	global_wb scope:SCOPE_SE
	s_wait_dscnt 0x0
	s_barrier_signal -1
	v_add3_u32 v86, 0, v87, v28
	v_mul_u32_u24_e32 v28, 0x548, v29
	v_lshlrev_b32_e32 v29, 2, v30
	s_barrier_wait -1
	global_inv scope:SCOPE_SE
	v_add_nc_u32_e32 v88, 0x400, v86
	ds_store_2addr_b32 v86, v31, v35 offset1:26
	ds_store_2addr_b32 v86, v36, v40 offset0:52 offset1:78
	v_add3_u32 v87, 0, v28, v29
	ds_store_2addr_b32 v86, v41, v44 offset0:104 offset1:130
	ds_store_2addr_b32 v86, v39, v42 offset0:156 offset1:182
	;; [unrolled: 1-line block ×4, first 2 shown]
	ds_store_b32 v86, v32 offset:1248
	ds_store_2addr_b32 v87, v46, v43 offset1:26
	v_add_nc_u32_e32 v89, 0x400, v87
	ds_store_2addr_b32 v87, v45, v50 offset0:52 offset1:78
	ds_store_2addr_b32 v87, v95, v49 offset0:104 offset1:130
	;; [unrolled: 1-line block ×5, first 2 shown]
	ds_store_b32 v87, v93 offset:1248
	global_wb scope:SCOPE_SE
	s_wait_dscnt 0x0
	s_barrier_signal -1
	s_barrier_wait -1
	global_inv scope:SCOPE_SE
	ds_load_2addr_b32 v[28:29], v57 offset1:52
	ds_load_2addr_b32 v[34:35], v64 offset0:82 offset1:134
	ds_load_2addr_b32 v[32:33], v72 offset0:164 offset1:216
	;; [unrolled: 1-line block ×11, first 2 shown]
                                        ; implicit-def: $vgpr94
                                        ; implicit-def: $vgpr95
	s_and_saveexec_b32 s1, s0
	s_cbranch_execz .LBB0_15
; %bb.14:
	ds_load_b32 v92, v57 offset:1248
	ds_load_b32 v93, v57 offset:2600
	;; [unrolled: 1-line block ×4, first 2 shown]
.LBB0_15:
	s_wait_alu 0xfffe
	s_or_b32 exec_lo, exec_lo, s1
	v_dual_add_f32 v96, v0, v83 :: v_dual_add_f32 v83, v83, v81
	v_dual_sub_f32 v82, v82, v85 :: v_dual_add_f32 v85, v79, v80
	v_sub_f32_e32 v77, v77, v84
	s_delay_alu instid0(VALU_DEP_3) | instskip(NEXT) | instid1(VALU_DEP_4)
	v_add_f32_e32 v79, v96, v79
	v_dual_mul_f32 v84, 0x3f62ad3f, v83 :: v_dual_sub_f32 v67, v67, v73
	s_delay_alu instid0(VALU_DEP_4) | instskip(NEXT) | instid1(VALU_DEP_3)
	v_mul_f32_e32 v102, 0xbeb58ec6, v85
	v_dual_mul_f32 v96, 0x3f116cb1, v83 :: v_dual_add_f32 v79, v79, v68
	v_mul_f32_e32 v100, 0xbf3f9e67, v83
	s_delay_alu instid0(VALU_DEP_4) | instskip(NEXT) | instid1(VALU_DEP_4)
	v_fmamk_f32 v105, v82, 0x3eedf032, v84
	v_dual_fmamk_f32 v111, v77, 0x3f6f5d39, v102 :: v_dual_add_f32 v68, v68, v76
	s_delay_alu instid0(VALU_DEP_4) | instskip(SKIP_2) | instid1(VALU_DEP_4)
	v_add_f32_e32 v79, v79, v66
	v_fmac_f32_e32 v84, 0xbeedf032, v82
	v_dual_add_f32 v66, v66, v71 :: v_dual_sub_f32 v23, v23, v54
	v_mul_f32_e32 v73, 0x3df6dbef, v68
	s_delay_alu instid0(VALU_DEP_4) | instskip(NEXT) | instid1(VALU_DEP_4)
	v_dual_add_f32 v79, v79, v61 :: v_dual_fmamk_f32 v106, v82, 0x3f52af12, v96
	v_dual_mul_f32 v97, 0x3df6dbef, v83 :: v_dual_add_f32 v84, v0, v84
	v_add_f32_e32 v61, v61, v65
	s_delay_alu instid0(VALU_DEP_3) | instskip(NEXT) | instid1(VALU_DEP_4)
	v_add_f32_e32 v79, v79, v53
	v_dual_mul_f32 v99, 0xbeb58ec6, v83 :: v_dual_add_f32 v106, v0, v106
	v_mul_f32_e32 v104, 0xbf3f9e67, v85
	v_fmamk_f32 v107, v82, 0x3f7e222b, v97
	s_delay_alu instid0(VALU_DEP_3)
	v_dual_add_f32 v79, v79, v55 :: v_dual_fmamk_f32 v108, v82, 0x3f6f5d39, v99
	v_dual_fmac_f32 v99, 0xbf6f5d39, v82 :: v_dual_fmac_f32 v102, 0xbf6f5d39, v77
	global_wb scope:SCOPE_SE
	s_wait_dscnt 0x0
	v_add_f32_e32 v79, v79, v65
	v_dual_mul_f32 v101, 0x3f116cb1, v85 :: v_dual_add_f32 v108, v0, v108
	v_fmac_f32_e32 v96, 0xbf52af12, v82
	v_mul_f32_e32 v83, 0xbf788fa5, v83
	s_delay_alu instid0(VALU_DEP_4) | instskip(SKIP_1) | instid1(VALU_DEP_4)
	v_add_f32_e32 v79, v79, v71
	v_add_f32_e32 v99, v0, v99
	v_dual_mul_f32 v65, 0x3f116cb1, v66 :: v_dual_add_f32 v96, v0, v96
	s_delay_alu instid0(VALU_DEP_3) | instskip(SKIP_2) | instid1(VALU_DEP_3)
	v_dual_fmamk_f32 v110, v82, 0x3e750f2a, v83 :: v_dual_add_f32 v79, v79, v76
	v_fmac_f32_e32 v83, 0xbe750f2a, v82
	s_barrier_signal -1
	v_add_f32_e32 v96, v102, v96
	s_delay_alu instid0(VALU_DEP_3)
	v_dual_mul_f32 v102, 0x3df6dbef, v85 :: v_dual_add_f32 v79, v79, v80
	v_dual_fmamk_f32 v109, v82, 0x3f29c268, v100 :: v_dual_add_f32 v80, v0, v110
	v_dual_fmac_f32 v100, 0xbf29c268, v82 :: v_dual_add_f32 v105, v0, v105
	v_fmac_f32_e32 v97, 0xbf7e222b, v82
	v_fmamk_f32 v82, v77, 0x3f52af12, v101
	v_fmac_f32_e32 v101, 0xbf52af12, v77
	s_delay_alu instid0(VALU_DEP_4) | instskip(SKIP_1) | instid1(VALU_DEP_3)
	v_dual_mul_f32 v103, 0xbf788fa5, v85 :: v_dual_add_f32 v100, v0, v100
	v_add_f32_e32 v109, v0, v109
	v_dual_add_f32 v83, v0, v83 :: v_dual_add_f32 v84, v101, v84
	v_fmamk_f32 v101, v77, 0xbf29c268, v104
	v_dual_fmac_f32 v104, 0x3f29c268, v77 :: v_dual_add_f32 v107, v0, v107
	v_add_f32_e32 v82, v82, v105
	v_dual_add_f32 v97, v0, v97 :: v_dual_fmamk_f32 v76, v77, 0xbf7e222b, v102
	s_delay_alu instid0(VALU_DEP_3)
	v_add_f32_e32 v99, v104, v99
	v_mul_f32_e32 v85, 0x3f62ad3f, v85
	v_fmac_f32_e32 v102, 0x3f7e222b, v77
	v_dual_add_f32 v0, v79, v81 :: v_dual_fmamk_f32 v81, v77, 0x3e750f2a, v103
	v_fmac_f32_e32 v103, 0xbe750f2a, v77
	v_sub_f32_e32 v62, v62, v69
	s_barrier_wait -1
	global_inv scope:SCOPE_SE
	v_dual_sub_f32 v60, v60, v63 :: v_dual_add_f32 v97, v103, v97
	v_fmamk_f32 v103, v77, 0xbeedf032, v85
	v_fmac_f32_e32 v85, 0x3eedf032, v77
	v_dual_add_f32 v77, v102, v100 :: v_dual_fmamk_f32 v100, v67, 0x3f7e222b, v73
	v_mul_f32_e32 v102, 0xbf788fa5, v68
	v_fmac_f32_e32 v73, 0xbf7e222b, v67
	s_delay_alu instid0(VALU_DEP_4) | instskip(SKIP_1) | instid1(VALU_DEP_4)
	v_add_f32_e32 v83, v85, v83
	v_dual_add_f32 v79, v111, v106 :: v_dual_add_f32 v76, v76, v109
	v_fmamk_f32 v85, v67, 0x3e750f2a, v102
	s_delay_alu instid0(VALU_DEP_4) | instskip(SKIP_3) | instid1(VALU_DEP_4)
	v_dual_fmac_f32 v102, 0xbe750f2a, v67 :: v_dual_add_f32 v73, v73, v84
	v_mul_f32_e32 v84, 0x3f62ad3f, v68
	v_add_f32_e32 v82, v100, v82
	v_mul_f32_e32 v100, 0xbeb58ec6, v68
	v_add_f32_e32 v96, v102, v96
	s_delay_alu instid0(VALU_DEP_4)
	v_dual_add_f32 v101, v101, v108 :: v_dual_fmamk_f32 v102, v67, 0xbeedf032, v84
	v_dual_add_f32 v80, v103, v80 :: v_dual_add_f32 v81, v81, v107
	v_add_f32_e32 v79, v85, v79
	v_fmamk_f32 v85, v67, 0xbf6f5d39, v100
	v_fmac_f32_e32 v100, 0x3f6f5d39, v67
	v_fmac_f32_e32 v84, 0x3eedf032, v67
	v_dual_mul_f32 v63, 0xbf3f9e67, v61 :: v_dual_sub_f32 v20, v20, v59
	s_delay_alu instid0(VALU_DEP_4) | instskip(NEXT) | instid1(VALU_DEP_4)
	v_add_f32_e32 v81, v85, v81
	v_add_f32_e32 v97, v100, v97
	v_mul_f32_e32 v85, 0x3f116cb1, v68
	v_mul_f32_e32 v68, 0xbf3f9e67, v68
	v_add_f32_e32 v100, v102, v101
	v_add_f32_e32 v84, v84, v99
	;; [unrolled: 1-line block ×3, first 2 shown]
	v_fmamk_f32 v71, v67, 0x3f52af12, v85
	v_fmac_f32_e32 v85, 0xbf52af12, v67
                                        ; implicit-def: $vgpr99
	v_sub_f32_e32 v16, v16, v22
	v_sub_f32_e32 v12, v12, v18
	s_delay_alu instid0(VALU_DEP_4) | instskip(SKIP_3) | instid1(VALU_DEP_3)
	v_dual_sub_f32 v8, v8, v14 :: v_dual_add_f32 v71, v71, v76
	v_fmamk_f32 v76, v67, 0x3f29c268, v68
	v_dual_fmac_f32 v68, 0xbf29c268, v67 :: v_dual_add_f32 v67, v85, v77
	v_mul_f32_e32 v85, 0xbf3f9e67, v66
	v_dual_mul_f32 v69, 0xbeb58ec6, v66 :: v_dual_add_f32 v76, v76, v80
	s_delay_alu instid0(VALU_DEP_3) | instskip(SKIP_1) | instid1(VALU_DEP_4)
	v_add_f32_e32 v68, v68, v83
	v_sub_f32_e32 v6, v6, v9
	v_fmamk_f32 v80, v62, 0xbf29c268, v85
	v_dual_fmac_f32 v85, 0x3f29c268, v62 :: v_dual_sub_f32 v2, v2, v4
	s_delay_alu instid0(VALU_DEP_2) | instskip(NEXT) | instid1(VALU_DEP_2)
	v_add_f32_e32 v79, v80, v79
	v_dual_fmamk_f32 v77, v62, 0x3f6f5d39, v69 :: v_dual_add_f32 v80, v85, v96
	v_mul_f32_e32 v96, 0xbf788fa5, v66
	s_delay_alu instid0(VALU_DEP_2) | instskip(SKIP_1) | instid1(VALU_DEP_1)
	v_add_f32_e32 v77, v77, v82
	v_mul_f32_e32 v82, 0x3f62ad3f, v66
	v_fmamk_f32 v83, v62, 0xbeedf032, v82
	s_delay_alu instid0(VALU_DEP_1) | instskip(NEXT) | instid1(VALU_DEP_1)
	v_dual_fmac_f32 v82, 0x3eedf032, v62 :: v_dual_add_f32 v81, v83, v81
	v_dual_fmac_f32 v69, 0xbf6f5d39, v62 :: v_dual_add_f32 v82, v82, v97
	s_delay_alu instid0(VALU_DEP_1) | instskip(SKIP_1) | instid1(VALU_DEP_1)
	v_add_f32_e32 v69, v69, v73
	v_mul_f32_e32 v73, 0x3df6dbef, v66
	v_fmamk_f32 v85, v62, 0x3f7e222b, v73
	v_fmac_f32_e32 v73, 0xbf7e222b, v62
	s_delay_alu instid0(VALU_DEP_2) | instskip(SKIP_2) | instid1(VALU_DEP_2)
	v_add_f32_e32 v83, v85, v100
	v_fmamk_f32 v85, v62, 0xbe750f2a, v96
	v_fmac_f32_e32 v96, 0x3e750f2a, v62
	v_dual_add_f32 v66, v85, v71 :: v_dual_fmamk_f32 v71, v62, 0xbf52af12, v65
	v_fmac_f32_e32 v65, 0x3f52af12, v62
	s_delay_alu instid0(VALU_DEP_3) | instskip(NEXT) | instid1(VALU_DEP_3)
	v_dual_mul_f32 v62, 0x3df6dbef, v61 :: v_dual_add_f32 v67, v96, v67
	v_add_f32_e32 v71, v71, v76
	s_delay_alu instid0(VALU_DEP_2) | instskip(SKIP_2) | instid1(VALU_DEP_3)
	v_dual_add_f32 v65, v65, v68 :: v_dual_fmamk_f32 v68, v60, 0xbf7e222b, v62
	v_dual_add_f32 v73, v73, v84 :: v_dual_fmamk_f32 v84, v60, 0x3f29c268, v63
	v_fmac_f32_e32 v62, 0x3f7e222b, v60
	v_add_f32_e32 v68, v68, v79
	s_delay_alu instid0(VALU_DEP_3) | instskip(NEXT) | instid1(VALU_DEP_3)
	v_add_f32_e32 v76, v84, v77
	v_dual_mul_f32 v77, 0xbf788fa5, v61 :: v_dual_add_f32 v62, v62, v80
	s_delay_alu instid0(VALU_DEP_1) | instskip(SKIP_1) | instid1(VALU_DEP_1)
	v_fmamk_f32 v84, v60, 0xbe750f2a, v77
	v_fmac_f32_e32 v77, 0x3e750f2a, v60
	v_add_f32_e32 v73, v77, v73
	v_add_f32_e32 v77, v1, v21
	s_delay_alu instid0(VALU_DEP_1) | instskip(NEXT) | instid1(VALU_DEP_1)
	v_add_f32_e32 v54, v77, v17
	v_dual_add_f32 v17, v17, v52 :: v_dual_add_f32 v54, v54, v13
	v_add_f32_e32 v13, v13, v19
	s_delay_alu instid0(VALU_DEP_2) | instskip(NEXT) | instid1(VALU_DEP_3)
	v_dual_add_f32 v21, v21, v58 :: v_dual_mul_f32 v22, 0x3f116cb1, v17
	v_dual_add_f32 v54, v54, v10 :: v_dual_mul_f32 v79, 0x3f62ad3f, v61
	v_mul_f32_e32 v55, 0xbeb58ec6, v61
	s_delay_alu instid0(VALU_DEP_4) | instskip(NEXT) | instid1(VALU_DEP_3)
	v_mul_f32_e32 v18, 0x3df6dbef, v13
	v_dual_mul_f32 v59, 0x3f62ad3f, v21 :: v_dual_add_f32 v54, v54, v7
	s_delay_alu instid0(VALU_DEP_4) | instskip(SKIP_2) | instid1(VALU_DEP_4)
	v_fmamk_f32 v85, v60, 0xbeedf032, v79
	v_fmac_f32_e32 v79, 0x3eedf032, v60
	v_fmamk_f32 v77, v60, 0x3f6f5d39, v55
	v_dual_fmac_f32 v55, 0xbf6f5d39, v60 :: v_dual_add_f32 v54, v54, v3
	s_delay_alu instid0(VALU_DEP_4) | instskip(SKIP_2) | instid1(VALU_DEP_4)
	v_add_f32_e32 v66, v85, v66
	v_add_f32_e32 v10, v10, v15
	;; [unrolled: 1-line block ×4, first 2 shown]
	v_dual_add_f32 v54, v54, v5 :: v_dual_fmac_f32 v63, 0xbf29c268, v60
	v_mul_f32_e32 v65, 0x3f62ad3f, v53
	v_dual_mul_f32 v14, 0xbeb58ec6, v10 :: v_dual_add_f32 v3, v3, v5
	s_delay_alu instid0(VALU_DEP_3) | instskip(SKIP_3) | instid1(VALU_DEP_4)
	v_dual_add_f32 v54, v54, v11 :: v_dual_add_f32 v63, v63, v69
	v_mul_f32_e32 v69, 0x3f116cb1, v61
	v_mul_f32_e32 v61, 0xbf788fa5, v53
	;; [unrolled: 1-line block ×3, first 2 shown]
	v_add_f32_e32 v54, v54, v15
	v_mul_f32_e32 v4, 0xbf788fa5, v3
	v_fmamk_f32 v80, v60, 0x3f52af12, v69
	v_dual_fmac_f32 v69, 0xbf52af12, v60 :: v_dual_add_f32 v60, v79, v67
	v_fmamk_f32 v67, v23, 0x3e750f2a, v61
	s_delay_alu instid0(VALU_DEP_3) | instskip(NEXT) | instid1(VALU_DEP_3)
	v_dual_fmac_f32 v61, 0xbe750f2a, v23 :: v_dual_add_f32 v80, v80, v81
	v_add_f32_e32 v69, v69, v82
	v_add_f32_e32 v81, v84, v83
	s_delay_alu instid0(VALU_DEP_4) | instskip(NEXT) | instid1(VALU_DEP_4)
	v_dual_add_f32 v67, v67, v76 :: v_dual_mul_f32 v76, 0xbf3f9e67, v53
	v_add_f32_e32 v61, v61, v63
	v_dual_add_f32 v54, v54, v19 :: v_dual_mul_f32 v83, 0xbeb58ec6, v17
	v_mul_f32_e32 v5, 0xbeb58ec6, v7
	s_delay_alu instid0(VALU_DEP_4) | instskip(SKIP_3) | instid1(VALU_DEP_4)
	v_fmamk_f32 v63, v23, 0x3f29c268, v76
	v_fmac_f32_e32 v76, 0xbf29c268, v23
	v_add_f32_e32 v71, v77, v71
	v_fmamk_f32 v77, v23, 0xbeedf032, v65
	v_add_f32_e32 v63, v63, v80
	s_delay_alu instid0(VALU_DEP_2) | instskip(SKIP_1) | instid1(VALU_DEP_1)
	v_dual_add_f32 v69, v76, v69 :: v_dual_add_f32 v68, v77, v68
	v_mul_f32_e32 v77, 0xbeb58ec6, v53
	v_fmamk_f32 v76, v23, 0x3f6f5d39, v77
	s_delay_alu instid0(VALU_DEP_1) | instskip(SKIP_1) | instid1(VALU_DEP_1)
	v_add_f32_e32 v66, v76, v66
	v_mul_f32_e32 v76, 0xbeb58ec6, v21
	v_fmamk_f32 v80, v20, 0x3f6f5d39, v76
	v_fmac_f32_e32 v76, 0xbf6f5d39, v20
	s_delay_alu instid0(VALU_DEP_2) | instskip(NEXT) | instid1(VALU_DEP_2)
	v_add_f32_e32 v80, v1, v80
	v_dual_add_f32 v76, v1, v76 :: v_dual_fmac_f32 v65, 0x3eedf032, v23
	s_delay_alu instid0(VALU_DEP_1) | instskip(SKIP_1) | instid1(VALU_DEP_2)
	v_dual_fmac_f32 v77, 0xbf6f5d39, v23 :: v_dual_add_f32 v62, v65, v62
	v_mul_f32_e32 v65, 0x3f116cb1, v53
	v_dual_mul_f32 v53, 0x3df6dbef, v53 :: v_dual_add_f32 v60, v77, v60
	s_delay_alu instid0(VALU_DEP_2) | instskip(SKIP_1) | instid1(VALU_DEP_2)
	v_fmamk_f32 v79, v23, 0xbf52af12, v65
	v_fmac_f32_e32 v65, 0x3f52af12, v23
	v_add_f32_e32 v79, v79, v81
	s_delay_alu instid0(VALU_DEP_2) | instskip(SKIP_3) | instid1(VALU_DEP_3)
	v_add_f32_e32 v65, v65, v73
	v_fmamk_f32 v73, v23, 0xbf7e222b, v53
	v_fmac_f32_e32 v53, 0x3f7e222b, v23
	v_add_f32_e32 v23, v54, v52
	v_dual_mul_f32 v81, 0xbf3f9e67, v21 :: v_dual_add_f32 v54, v73, v71
	v_fmamk_f32 v71, v20, 0x3eedf032, v59
	v_mul_f32_e32 v73, 0x3f116cb1, v21
	s_delay_alu instid0(VALU_DEP_3) | instskip(SKIP_1) | instid1(VALU_DEP_4)
	v_dual_add_f32 v53, v53, v55 :: v_dual_fmamk_f32 v52, v20, 0x3f29c268, v81
	v_fmac_f32_e32 v81, 0xbf29c268, v20
	v_add_f32_e32 v55, v1, v71
	v_mul_f32_e32 v71, 0x3df6dbef, v21
	v_mul_f32_e32 v21, 0xbf788fa5, v21
	v_add_f32_e32 v23, v23, v58
	v_fmac_f32_e32 v59, 0xbeedf032, v20
	v_fmamk_f32 v58, v20, 0x3f52af12, v73
	v_fmac_f32_e32 v73, 0xbf52af12, v20
	v_fmamk_f32 v77, v20, 0x3f7e222b, v71
	;; [unrolled: 2-line block ×3, first 2 shown]
	v_dual_fmac_f32 v21, 0xbe750f2a, v20 :: v_dual_add_f32 v20, v1, v81
	v_fmamk_f32 v81, v16, 0x3f52af12, v22
	v_add_f32_e32 v59, v1, v59
	v_add_f32_e32 v58, v1, v58
	;; [unrolled: 1-line block ×9, first 2 shown]
	v_fmamk_f32 v55, v16, 0x3f6f5d39, v83
	v_mul_f32_e32 v81, 0xbf788fa5, v17
	v_fmac_f32_e32 v22, 0xbf52af12, v16
	v_fmac_f32_e32 v83, 0xbf6f5d39, v16
	s_delay_alu instid0(VALU_DEP_3) | instskip(NEXT) | instid1(VALU_DEP_3)
	v_dual_add_f32 v55, v55, v58 :: v_dual_fmamk_f32 v58, v16, 0x3e750f2a, v81
	v_dual_add_f32 v22, v22, v59 :: v_dual_mul_f32 v59, 0xbf3f9e67, v17
	s_delay_alu instid0(VALU_DEP_3) | instskip(NEXT) | instid1(VALU_DEP_3)
	v_add_f32_e32 v73, v83, v73
	v_dual_fmac_f32 v81, 0xbe750f2a, v16 :: v_dual_add_f32 v58, v58, v77
	v_mul_f32_e32 v77, 0x3df6dbef, v17
	s_delay_alu instid0(VALU_DEP_4) | instskip(SKIP_2) | instid1(VALU_DEP_4)
	v_fmamk_f32 v83, v16, 0xbf29c268, v59
	v_fmac_f32_e32 v59, 0x3f29c268, v16
	v_mul_f32_e32 v17, 0x3f62ad3f, v17
	v_fmamk_f32 v19, v16, 0xbf7e222b, v77
	v_fmac_f32_e32 v77, 0x3f7e222b, v16
	s_delay_alu instid0(VALU_DEP_4) | instskip(NEXT) | instid1(VALU_DEP_3)
	v_dual_add_f32 v59, v59, v76 :: v_dual_mul_f32 v76, 0xbf788fa5, v13
	v_dual_add_f32 v19, v19, v52 :: v_dual_fmamk_f32 v52, v16, 0xbeedf032, v17
	v_fmac_f32_e32 v17, 0x3eedf032, v16
	s_delay_alu instid0(VALU_DEP_4) | instskip(SKIP_2) | instid1(VALU_DEP_4)
	v_add_f32_e32 v16, v77, v20
	v_fmamk_f32 v20, v12, 0x3f7e222b, v18
	v_fmac_f32_e32 v18, 0xbf7e222b, v12
	v_dual_add_f32 v52, v52, v82 :: v_dual_add_f32 v1, v17, v1
	s_delay_alu instid0(VALU_DEP_3)
	v_add_f32_e32 v17, v20, v21
	v_fmamk_f32 v20, v12, 0x3e750f2a, v76
	v_mul_f32_e32 v21, 0xbeb58ec6, v13
	v_fmac_f32_e32 v76, 0xbe750f2a, v12
	v_add_f32_e32 v18, v18, v22
	v_mul_f32_e32 v22, 0x3f62ad3f, v13
	v_add_f32_e32 v20, v20, v55
	v_fmamk_f32 v55, v12, 0xbf6f5d39, v21
	v_add_f32_e32 v73, v76, v73
	v_fmac_f32_e32 v21, 0x3f6f5d39, v12
	v_fmamk_f32 v76, v12, 0xbeedf032, v22
	s_delay_alu instid0(VALU_DEP_4) | instskip(SKIP_2) | instid1(VALU_DEP_2)
	v_dual_fmac_f32 v22, 0x3eedf032, v12 :: v_dual_add_f32 v55, v55, v58
	v_mul_f32_e32 v58, 0x3f116cb1, v13
	v_mul_f32_e32 v13, 0xbf3f9e67, v13
	v_fmamk_f32 v15, v12, 0x3f52af12, v58
	s_delay_alu instid0(VALU_DEP_1) | instskip(NEXT) | instid1(VALU_DEP_3)
	v_dual_fmac_f32 v58, 0xbf52af12, v12 :: v_dual_add_f32 v15, v15, v19
	v_fmamk_f32 v19, v12, 0x3f29c268, v13
	v_fmac_f32_e32 v13, 0xbf29c268, v12
	s_delay_alu instid0(VALU_DEP_3) | instskip(SKIP_2) | instid1(VALU_DEP_4)
	v_add_f32_e32 v12, v58, v16
	v_fmamk_f32 v16, v8, 0x3f6f5d39, v14
	v_mul_f32_e32 v58, 0xbf3f9e67, v10
	v_dual_fmac_f32 v14, 0xbf6f5d39, v8 :: v_dual_add_f32 v1, v13, v1
	v_add_f32_e32 v71, v81, v71
	s_delay_alu instid0(VALU_DEP_4) | instskip(NEXT) | instid1(VALU_DEP_4)
	v_add_f32_e32 v13, v16, v17
	v_fmamk_f32 v16, v8, 0xbf29c268, v58
	v_mul_f32_e32 v17, 0x3f62ad3f, v10
	v_fmac_f32_e32 v58, 0x3f29c268, v8
	v_add_f32_e32 v14, v14, v18
	v_mul_f32_e32 v18, 0x3df6dbef, v10
	v_add_f32_e32 v16, v16, v20
	v_dual_fmamk_f32 v20, v8, 0xbeedf032, v17 :: v_dual_add_f32 v19, v19, v52
	v_dual_add_f32 v52, v58, v73 :: v_dual_fmac_f32 v17, 0x3eedf032, v8
	s_delay_alu instid0(VALU_DEP_4) | instskip(NEXT) | instid1(VALU_DEP_3)
	v_fmamk_f32 v58, v8, 0x3f7e222b, v18
	v_dual_add_f32 v20, v20, v55 :: v_dual_mul_f32 v55, 0xbf788fa5, v10
	v_mul_f32_e32 v10, 0x3f116cb1, v10
	v_dual_fmac_f32 v18, 0xbf7e222b, v8 :: v_dual_add_f32 v21, v21, v71
	s_delay_alu instid0(VALU_DEP_3) | instskip(SKIP_1) | instid1(VALU_DEP_3)
	v_fmamk_f32 v11, v8, 0xbe750f2a, v55
	v_fmac_f32_e32 v55, 0x3e750f2a, v8
	v_add_f32_e32 v17, v17, v21
	s_delay_alu instid0(VALU_DEP_3) | instskip(SKIP_4) | instid1(VALU_DEP_3)
	v_add_f32_e32 v11, v11, v15
	v_fmamk_f32 v15, v8, 0xbf52af12, v10
	v_fmac_f32_e32 v10, 0x3f52af12, v8
	v_fmamk_f32 v8, v6, 0x3f29c268, v9
	v_dual_add_f32 v22, v22, v59 :: v_dual_fmac_f32 v9, 0xbf29c268, v6
	v_dual_add_f32 v12, v55, v12 :: v_dual_add_f32 v1, v10, v1
	s_delay_alu instid0(VALU_DEP_3) | instskip(NEXT) | instid1(VALU_DEP_3)
	v_add_f32_e32 v8, v8, v13
	v_add_f32_e32 v18, v18, v22
	v_mul_f32_e32 v22, 0x3df6dbef, v7
	v_mul_f32_e32 v13, 0x3f116cb1, v7
	v_dual_add_f32 v9, v9, v14 :: v_dual_mul_f32 v14, 0xbf788fa5, v7
	s_delay_alu instid0(VALU_DEP_3) | instskip(SKIP_1) | instid1(VALU_DEP_2)
	v_dual_add_f32 v15, v15, v19 :: v_dual_fmamk_f32 v10, v6, 0xbf7e222b, v22
	v_fmac_f32_e32 v22, 0x3f7e222b, v6
	v_add_f32_e32 v10, v10, v16
	v_fmamk_f32 v16, v6, 0x3f52af12, v13
	v_fmac_f32_e32 v13, 0xbf52af12, v6
	s_delay_alu instid0(VALU_DEP_4) | instskip(SKIP_2) | instid1(VALU_DEP_4)
	v_add_f32_e32 v19, v22, v52
	v_fmamk_f32 v22, v6, 0xbe750f2a, v14
	v_fmac_f32_e32 v14, 0x3e750f2a, v6
	v_dual_add_f32 v16, v16, v20 :: v_dual_add_f32 v13, v13, v17
	s_delay_alu instid0(VALU_DEP_2) | instskip(SKIP_2) | instid1(VALU_DEP_3)
	v_dual_mul_f32 v17, 0x3f62ad3f, v7 :: v_dual_add_f32 v14, v14, v18
	v_fmamk_f32 v18, v6, 0x3f6f5d39, v5
	v_fmac_f32_e32 v5, 0xbf6f5d39, v6
	v_fmamk_f32 v7, v6, 0xbeedf032, v17
	v_fmac_f32_e32 v17, 0x3eedf032, v6
	s_delay_alu instid0(VALU_DEP_3) | instskip(NEXT) | instid1(VALU_DEP_3)
	v_add_f32_e32 v1, v5, v1
	v_add_f32_e32 v7, v7, v11
	s_delay_alu instid0(VALU_DEP_3) | instskip(SKIP_3) | instid1(VALU_DEP_4)
	v_dual_add_f32 v11, v17, v12 :: v_dual_fmamk_f32 v6, v2, 0x3e750f2a, v4
	v_fmac_f32_e32 v4, 0xbe750f2a, v2
	v_add_f32_e32 v12, v18, v15
	v_mul_f32_e32 v15, 0x3f62ad3f, v3
	v_dual_add_f32 v5, v6, v8 :: v_dual_mul_f32 v6, 0xbf3f9e67, v3
	s_delay_alu instid0(VALU_DEP_2) | instskip(SKIP_2) | instid1(VALU_DEP_4)
	v_dual_add_f32 v97, v4, v9 :: v_dual_fmamk_f32 v8, v2, 0xbeedf032, v15
	v_fmac_f32_e32 v15, 0x3eedf032, v2
	v_mul_f32_e32 v4, 0x3f116cb1, v3
	v_fmamk_f32 v9, v2, 0x3f29c268, v6
	v_fmac_f32_e32 v6, 0xbf29c268, v2
	v_add_f32_e32 v80, v83, v80
	v_add_f32_e32 v96, v15, v19
	v_mul_f32_e32 v15, 0xbeb58ec6, v3
	v_dual_mul_f32 v3, 0x3df6dbef, v3 :: v_dual_add_f32 v8, v8, v10
	s_delay_alu instid0(VALU_DEP_4) | instskip(SKIP_1) | instid1(VALU_DEP_2)
	v_dual_add_f32 v71, v76, v80 :: v_dual_fmamk_f32 v10, v2, 0xbf52af12, v4
	v_dual_add_f32 v9, v9, v16 :: v_dual_add_f32 v6, v6, v13
	v_dual_fmac_f32 v4, 0x3f52af12, v2 :: v_dual_add_f32 v21, v58, v71
	v_fmamk_f32 v13, v2, 0x3f6f5d39, v15
	v_fmac_f32_e32 v15, 0xbf6f5d39, v2
	v_fmamk_f32 v16, v2, 0xbf7e222b, v3
	s_delay_alu instid0(VALU_DEP_4)
	v_dual_fmac_f32 v3, 0x3f7e222b, v2 :: v_dual_add_f32 v20, v22, v21
	v_add_f32_e32 v2, v4, v14
	v_add_f32_e32 v4, v13, v7
	;; [unrolled: 1-line block ×4, first 2 shown]
	v_dual_add_f32 v10, v10, v20 :: v_dual_add_f32 v1, v3, v1
	ds_store_2addr_b32 v86, v0, v67 offset1:26
	ds_store_2addr_b32 v86, v68, v63 offset0:52 offset1:78
	ds_store_2addr_b32 v86, v79, v66 offset0:104 offset1:130
	;; [unrolled: 1-line block ×5, first 2 shown]
	ds_store_b32 v86, v61 offset:1248
	ds_store_2addr_b32 v87, v23, v5 offset1:26
	ds_store_2addr_b32 v87, v8, v9 offset0:52 offset1:78
	ds_store_2addr_b32 v87, v10, v4 offset0:104 offset1:130
	;; [unrolled: 1-line block ×5, first 2 shown]
	ds_store_b32 v87, v97 offset:1248
	global_wb scope:SCOPE_SE
	s_wait_dscnt 0x0
	s_barrier_signal -1
	s_barrier_wait -1
	global_inv scope:SCOPE_SE
	ds_load_2addr_b32 v[52:53], v57 offset1:52
	ds_load_2addr_b32 v[58:59], v64 offset0:82 offset1:134
	ds_load_2addr_b32 v[62:63], v72 offset0:164 offset1:216
	;; [unrolled: 1-line block ×11, first 2 shown]
                                        ; implicit-def: $vgpr98
	s_and_saveexec_b32 s1, s0
	s_cbranch_execz .LBB0_17
; %bb.16:
	ds_load_b32 v96, v57 offset:1248
	ds_load_b32 v97, v57 offset:2600
	;; [unrolled: 1-line block ×4, first 2 shown]
	v_mov_b32_e32 v91, v56
.LBB0_17:
	s_wait_alu 0xfffe
	s_or_b32 exec_lo, exec_lo, s1
	s_and_saveexec_b32 s0, vcc_lo
	s_cbranch_execz .LBB0_20
; %bb.18:
	v_mul_u32_u24_e32 v0, 3, v78
	v_mul_u32_u24_e32 v1, 3, v90
	v_mad_u32_u24 v56, v78, 3, 0xffffff64
	v_mul_lo_u32 v104, s3, v26
	v_mul_lo_u32 v107, s2, v27
	v_dual_mov_b32 v57, 0 :: v_dual_lshlrev_b32 v0, 3, v0
	v_lshlrev_b32_e32 v1, 3, v1
	v_add_nc_u32_e32 v100, 52, v90
	v_mad_co_u64_u32 v[26:27], null, s2, v26, 0
	s_delay_alu instid0(VALU_DEP_4)
	v_dual_mov_b32 v103, v57 :: v_dual_mov_b32 v106, v57
	s_clause 0x3
	global_load_b128 v[20:23], v0, s[4:5] offset:2688
	global_load_b128 v[16:19], v1, s[4:5] offset:2688
	global_load_b64 v[88:89], v0, s[4:5] offset:2704
	global_load_b64 v[86:87], v1, s[4:5] offset:2704
	v_lshlrev_b64_e32 v[0:1], 3, v[56:57]
	v_mad_u32_u24 v56, v78, 3, 0xfffffec8
	v_dual_mov_b32 v108, v57 :: v_dual_add_nc_u32 v101, 0x68, v90
	v_mul_hi_u32 v116, 0x60f25deb, v100
	v_dual_mov_b32 v105, v57 :: v_dual_add_nc_u32 v102, 0x9c, v90
	v_add_co_u32 v0, vcc_lo, s4, v0
	s_wait_alu 0xfffd
	v_add_co_ci_u32_e32 v1, vcc_lo, s5, v1, vcc_lo
	v_mul_hi_u32 v117, 0x60f25deb, v101
	v_add3_u32 v27, v27, v107, v104
	v_lshrrev_b32_e32 v104, 7, v116
	s_clause 0x1
	global_load_b128 v[12:15], v[0:1], off offset:2688
	global_load_b64 v[84:85], v[0:1], off offset:2704
	v_lshlrev_b64_e32 v[0:1], 3, v[56:57]
	v_mad_u32_u24 v56, v78, 3, 0xfffffe2c
	v_mul_hi_u32 v118, 0x60f25deb, v102
	v_lshrrev_b32_e32 v107, 7, v117
	v_mul_u32_u24_e32 v116, 0x152, v104
	v_dual_mov_b32 v109, v57 :: v_dual_add_nc_u32 v110, 0xd0, v90
	v_add_co_u32 v0, vcc_lo, s4, v0
	s_wait_alu 0xfffd
	v_add_co_ci_u32_e32 v1, vcc_lo, s5, v1, vcc_lo
	s_clause 0x1
	global_load_b128 v[8:11], v[0:1], off offset:2688
	global_load_b64 v[82:83], v[0:1], off offset:2704
	v_lshlrev_b64_e32 v[0:1], 3, v[56:57]
	v_mad_u32_u24 v56, v78, 3, 0xfffffd90
	v_dual_mov_b32 v112, v57 :: v_dual_add_nc_u32 v113, 0x104, v90
	v_lshlrev_b64_e32 v[26:27], 3, v[26:27]
	v_lshrrev_b32_e32 v124, 7, v118
	v_add_co_u32 v0, vcc_lo, s4, v0
	s_wait_alu 0xfffd
	v_add_co_ci_u32_e32 v1, vcc_lo, s5, v1, vcc_lo
	s_clause 0x1
	global_load_b128 v[4:7], v[0:1], off offset:2688
	global_load_b64 v[80:81], v[0:1], off offset:2704
	v_lshlrev_b64_e32 v[0:1], 3, v[56:57]
	v_mul_hi_u32 v56, 0x60f25deb, v90
	v_mul_u32_u24_e32 v117, 0x152, v107
	v_sub_nc_u32_e32 v100, v100, v116
	v_lshlrev_b64_e32 v[24:25], 3, v[24:25]
	v_mul_hi_u32 v119, 0x60f25deb, v110
	v_add_co_u32 v78, vcc_lo, s4, v0
	s_wait_alu 0xfffd
	v_add_co_ci_u32_e32 v79, vcc_lo, s5, v1, vcc_lo
	s_clause 0x1
	global_load_b128 v[0:3], v[78:79], off offset:2688
	global_load_b64 v[78:79], v[78:79], off offset:2704
	v_lshrrev_b32_e32 v56, 7, v56
	v_mul_hi_u32 v120, 0x60f25deb, v113
	v_add_co_u32 v26, vcc_lo, s10, v26
	v_mul_u32_u24_e32 v118, 0x152, v124
	s_delay_alu instid0(VALU_DEP_4)
	v_mul_u32_u24_e32 v56, 0x152, v56
	s_wait_alu 0xfffd
	v_add_co_ci_u32_e32 v27, vcc_lo, s11, v27, vcc_lo
	v_sub_nc_u32_e32 v121, v101, v117
	v_add_co_u32 v24, vcc_lo, v26, v24
	v_sub_nc_u32_e32 v56, v90, v56
	v_lshrrev_b32_e32 v128, 7, v119
	v_lshrrev_b32_e32 v134, 7, v120
	v_sub_nc_u32_e32 v125, v102, v118
	s_wait_alu 0xfffd
	v_add_co_ci_u32_e32 v25, vcc_lo, v27, v25, vcc_lo
	v_lshlrev_b32_e32 v101, 3, v56
	v_mad_u32_u24 v56, 0x548, v104, v100
	v_mov_b32_e32 v115, v57
	v_mul_u32_u24_e32 v119, 0x152, v128
	v_mul_u32_u24_e32 v120, 0x152, v134
	v_dual_mov_b32 v111, v57 :: v_dual_mov_b32 v114, v57
	v_lshlrev_b64_e32 v[26:27], 3, v[56:57]
	v_add_nc_u32_e32 v102, 0x152, v56
	v_add_nc_u32_e32 v104, 0x2a4, v56
	;; [unrolled: 1-line block ×3, first 2 shown]
	v_sub_nc_u32_e32 v129, v110, v119
	v_sub_nc_u32_e32 v135, v113, v120
	v_lshlrev_b64_e32 v[102:103], 3, v[102:103]
	s_wait_loadcnt 0xb
	v_mul_f32_e32 v136, v51, v23
	s_wait_dscnt 0x1
	v_mul_f32_e32 v23, v77, v23
	v_lshlrev_b64_e32 v[116:117], 3, v[56:57]
	v_mad_u32_u24 v56, 0x548, v107, v121
	v_mul_f32_e32 v137, v73, v21
	v_lshlrev_b64_e32 v[118:119], 3, v[104:105]
	s_wait_loadcnt 0xa
	v_dual_mul_f32 v21, v49, v21 :: v_dual_mul_f32 v138, v32, v19
	v_lshlrev_b64_e32 v[120:121], 3, v[56:57]
	v_add_nc_u32_e32 v105, 0x152, v56
	v_add_nc_u32_e32 v107, 0x2a4, v56
	;; [unrolled: 1-line block ×3, first 2 shown]
	v_mul_f32_e32 v139, v34, v16
	v_mul_f32_e32 v34, v34, v17
	v_lshlrev_b64_e32 v[104:105], 3, v[105:106]
	v_lshlrev_b64_e32 v[106:107], 3, v[107:108]
	;; [unrolled: 1-line block ×3, first 2 shown]
	v_mad_u32_u24 v56, 0x548, v124, v125
	s_wait_loadcnt 0x8
	v_mul_f32_e32 v141, v36, v86
	v_mul_f32_e32 v19, v62, v19
	v_fma_f32 v77, v77, v22, -v136
	v_fmac_f32_e32 v137, v49, v20
	v_lshlrev_b64_e32 v[124:125], 3, v[56:57]
	v_add_nc_u32_e32 v108, 0x152, v56
	v_add_nc_u32_e32 v110, 0x2a4, v56
	;; [unrolled: 1-line block ×3, first 2 shown]
	s_wait_dscnt 0x0
	v_mul_f32_e32 v140, v75, v89
	v_dual_mul_f32 v89, v47, v89 :: v_dual_mul_f32 v36, v36, v87
	v_fmac_f32_e32 v23, v51, v22
	v_lshlrev_b64_e32 v[126:127], 3, v[56:57]
	v_mad_u32_u24 v56, 0x548, v128, v129
	v_lshlrev_b64_e32 v[128:129], 3, v[110:111]
	v_fma_f32 v20, v73, v20, -v21
	v_fma_f32 v21, v62, v18, -v138
	v_dual_fmac_f32 v19, v32, v18 :: v_dual_fmac_f32 v140, v47, v88
	v_lshlrev_b64_e32 v[130:131], 3, v[56:57]
	v_add_nc_u32_e32 v111, 0x152, v56
	v_add_nc_u32_e32 v113, 0x2a4, v56
	;; [unrolled: 1-line block ×3, first 2 shown]
	v_fma_f32 v16, v58, v16, -v34
	v_fma_f32 v18, v60, v86, -v36
	s_wait_loadcnt 0x7
	v_mul_f32_e32 v22, v50, v15
	s_wait_loadcnt 0x6
	v_dual_mul_f32 v15, v76, v15 :: v_dual_mul_f32 v36, v46, v85
	v_lshlrev_b64_e32 v[132:133], 3, v[56:57]
	v_mad_u32_u24 v56, 0x548, v134, v135
	v_lshlrev_b64_e32 v[110:111], 3, v[111:112]
	v_lshlrev_b64_e32 v[112:113], 3, v[113:114]
	v_dual_fmac_f32 v141, v60, v87 :: v_dual_mul_f32 v34, v74, v85
	v_mul_f32_e32 v32, v72, v13
	v_dual_fmac_f32 v139, v58, v17 :: v_dual_add_nc_u32 v114, 0x152, v56
	v_fma_f32 v17, v75, v88, -v89
	s_delay_alu instid0(VALU_DEP_4)
	v_dual_mul_f32 v13, v48, v13 :: v_dual_fmac_f32 v34, v46, v84
	v_dual_sub_f32 v47, v71, v77 :: v_dual_sub_f32 v18, v16, v18
	s_wait_loadcnt 0x4
	v_dual_sub_f32 v49, v137, v140 :: v_dual_mul_f32 v58, v67, v83
	v_sub_f32_e32 v21, v52, v21
	v_sub_f32_e32 v19, v28, v19
	v_dual_fmac_f32 v15, v50, v14 :: v_dual_mul_f32 v62, v45, v83
	v_mul_f32_e32 v50, v43, v8
	v_dual_sub_f32 v23, v39, v23 :: v_dual_fmac_f32 v32, v48, v12
	v_dual_sub_f32 v17, v20, v17 :: v_dual_mul_f32 v46, v41, v11
	v_dual_sub_f32 v51, v139, v141 :: v_dual_mul_f32 v60, v69, v11
	v_fma_f32 v22, v76, v14, -v22
	v_fma_f32 v48, v72, v12, -v13
	v_fma_f32 v36, v74, v84, -v36
	s_delay_alu instid0(VALU_DEP_4)
	v_dual_mul_f32 v43, v43, v9 :: v_dual_sub_f32 v14, v21, v51
	v_sub_f32_e32 v12, v47, v49
	v_dual_add_f32 v13, v19, v18 :: v_dual_fmac_f32 v50, v65, v9
	v_dual_fmac_f32 v58, v45, v82 :: v_dual_add_f32 v11, v23, v17
	v_fmac_f32_e32 v60, v41, v10
	v_fma_f32 v71, v71, 2.0, -v47
	v_fma_f32 v17, v20, 2.0, -v17
	;; [unrolled: 1-line block ×7, first 2 shown]
	v_fma_f32 v41, v65, v8, -v43
	s_wait_loadcnt 0x3
	v_dual_sub_f32 v22, v70, v22 :: v_dual_mul_f32 v45, v40, v7
	v_fma_f32 v43, v67, v82, -v62
	v_mul_f32_e32 v52, v42, v4
	v_dual_mul_f32 v42, v42, v5 :: v_dual_sub_f32 v9, v39, v20
	s_wait_loadcnt 0x2
	v_dual_mul_f32 v62, v44, v80 :: v_dual_sub_f32 v67, v38, v15
	v_mul_f32_e32 v65, v68, v7
	v_sub_f32_e32 v36, v48, v36
	v_fma_f32 v8, v47, 2.0, -v12
	v_dual_sub_f32 v47, v50, v58 :: v_dual_mul_f32 v44, v44, v81
	v_fma_f32 v18, v16, 2.0, -v18
	v_fma_f32 v46, v69, v10, -v46
	v_dual_sub_f32 v34, v32, v34 :: v_dual_sub_f32 v43, v41, v43
	v_fma_f32 v7, v23, 2.0, -v11
	v_dual_sub_f32 v10, v71, v17 :: v_dual_fmac_f32 v65, v40, v6
	v_fma_f32 v15, v19, 2.0, -v13
	v_sub_f32_e32 v17, v28, v51
	v_fma_f32 v23, v68, v6, -v45
	v_fma_f32 v45, v70, 2.0, -v22
	v_fma_f32 v40, v48, 2.0, -v36
	v_add_f32_e32 v19, v67, v36
	s_delay_alu instid0(VALU_DEP_4)
	v_dual_sub_f32 v48, v31, v60 :: v_dual_sub_f32 v23, v54, v23
	v_fma_f32 v42, v64, v4, -v42
	v_fma_f32 v44, v66, v80, -v44
	v_fmac_f32_e32 v52, v64, v5
	s_wait_loadcnt 0x1
	v_mul_f32_e32 v64, v63, v3
	v_fma_f32 v38, v38, 2.0, -v67
	v_dual_sub_f32 v20, v22, v34 :: v_dual_mul_f32 v51, v33, v3
	v_fma_f32 v32, v32, 2.0, -v34
	v_sub_f32_e32 v46, v55, v46
	v_mul_f32_e32 v58, v35, v0
	v_fma_f32 v3, v39, 2.0, -v9
	v_fma_f32 v31, v31, 2.0, -v48
	v_fma_f32 v39, v50, 2.0, -v47
	v_fmac_f32_e32 v62, v66, v81
	v_fmac_f32_e32 v64, v33, v2
	v_dual_mul_f32 v66, v35, v1 :: v_dual_sub_f32 v35, v45, v40
	v_sub_f32_e32 v18, v49, v18
	v_add_co_u32 v100, vcc_lo, v24, v101
	s_wait_alu 0xfffd
	v_add_co_ci_u32_e32 v101, vcc_lo, 0, v25, vcc_lo
	v_fma_f32 v5, v28, 2.0, -v17
	v_sub_f32_e32 v34, v38, v32
	v_fma_f32 v32, v41, 2.0, -v43
	s_wait_loadcnt 0x0
	v_dual_sub_f32 v41, v42, v44 :: v_dual_mul_f32 v60, v37, v78
	v_fma_f32 v44, v54, 2.0, -v23
	v_mul_f32_e32 v68, v37, v79
	v_sub_f32_e32 v37, v46, v47
	v_fma_f32 v6, v49, 2.0, -v18
	v_fma_f32 v16, v21, 2.0, -v14
	v_add_co_u32 v26, vcc_lo, v24, v26
	s_wait_alu 0xfffd
	v_add_co_ci_u32_e32 v27, vcc_lo, v25, v27, vcc_lo
	v_add_f32_e32 v36, v48, v43
	v_fma_f32 v28, v55, 2.0, -v46
	v_sub_f32_e32 v47, v30, v65
	v_fma_f32 v43, v63, v2, -v51
	s_clause 0x3
	global_store_b64 v[100:101], v[5:6], off
	global_store_b64 v[100:101], v[15:16], off offset:2704
	global_store_b64 v[100:101], v[17:18], off offset:5408
	;; [unrolled: 1-line block ×3, first 2 shown]
	v_dual_sub_f32 v13, v31, v39 :: v_dual_sub_f32 v40, v52, v62
	v_add_co_u32 v102, vcc_lo, v24, v102
	s_wait_alu 0xfffd
	v_add_co_ci_u32_e32 v103, vcc_lo, v25, v103, vcc_lo
	v_add_co_u32 v118, vcc_lo, v24, v118
	v_fma_f32 v6, v46, 2.0, -v37
	v_sub_f32_e32 v14, v28, v32
	v_sub_f32_e32 v16, v23, v40
	v_fma_f32 v32, v42, 2.0, -v41
	v_fma_f32 v46, v30, 2.0, -v47
	;; [unrolled: 1-line block ×3, first 2 shown]
	v_sub_f32_e32 v40, v53, v43
	s_wait_alu 0xfffd
	v_add_co_ci_u32_e32 v119, vcc_lo, v25, v119, vcc_lo
	v_add_co_u32 v116, vcc_lo, v24, v116
	s_wait_alu 0xfffd
	v_add_co_ci_u32_e32 v117, vcc_lo, v25, v117, vcc_lo
	v_add_co_u32 v120, vcc_lo, v24, v120
	v_fma_f32 v18, v28, 2.0, -v14
	v_fma_f32 v17, v31, 2.0, -v13
	;; [unrolled: 1-line block ×3, first 2 shown]
	v_fmac_f32_e32 v58, v59, v1
	v_fma_f32 v1, v45, 2.0, -v35
	v_sub_f32_e32 v45, v29, v64
	v_fma_f32 v2, v59, v0, -v66
	v_sub_f32_e32 v31, v44, v32
	v_fma_f32 v33, v61, v78, -v68
	s_wait_alu 0xfffd
	v_add_co_ci_u32_e32 v121, vcc_lo, v25, v121, vcc_lo
	v_add_co_u32 v104, vcc_lo, v24, v104
	s_wait_alu 0xfffd
	v_add_co_ci_u32_e32 v105, vcc_lo, v25, v105, vcc_lo
	v_add_f32_e32 v15, v47, v41
	v_sub_f32_e32 v41, v2, v33
	v_add_co_u32 v106, vcc_lo, v24, v106
	s_wait_alu 0xfffd
	v_add_co_ci_u32_e32 v107, vcc_lo, v25, v107, vcc_lo
	v_add_co_u32 v122, vcc_lo, v24, v122
	v_lshlrev_b64_e32 v[108:109], 3, v[108:109]
	v_fmac_f32_e32 v60, v61, v79
	v_fma_f32 v2, v2, 2.0, -v41
	s_wait_alu 0xfffd
	v_add_co_ci_u32_e32 v123, vcc_lo, v25, v123, vcc_lo
	v_add_co_u32 v124, vcc_lo, v24, v124
	s_delay_alu instid0(VALU_DEP_3)
	v_sub_f32_e32 v39, v28, v2
	s_wait_alu 0xfffd
	v_add_co_ci_u32_e32 v125, vcc_lo, v25, v125, vcc_lo
	v_add_co_u32 v108, vcc_lo, v24, v108
	v_fma_f32 v0, v38, 2.0, -v34
	v_sub_f32_e32 v38, v58, v60
	s_wait_alu 0xfffd
	v_add_co_ci_u32_e32 v109, vcc_lo, v25, v109, vcc_lo
	v_add_co_u32 v128, vcc_lo, v24, v128
	s_wait_alu 0xfffd
	v_add_co_ci_u32_e32 v129, vcc_lo, v25, v129, vcc_lo
	v_fma_f32 v42, v29, 2.0, -v45
	v_fma_f32 v43, v58, 2.0, -v38
	v_add_co_u32 v126, vcc_lo, v24, v126
	s_wait_alu 0xfffd
	v_add_co_ci_u32_e32 v127, vcc_lo, v25, v127, vcc_lo
	v_add_co_u32 v130, vcc_lo, v24, v130
	v_dual_sub_f32 v33, v40, v38 :: v_dual_sub_f32 v38, v42, v43
	s_wait_alu 0xfffd
	v_add_co_ci_u32_e32 v131, vcc_lo, v25, v131, vcc_lo
	v_add_f32_e32 v32, v45, v41
	v_add_co_u32 v110, vcc_lo, v24, v110
	s_wait_alu 0xfffd
	v_add_co_ci_u32_e32 v111, vcc_lo, v25, v111, vcc_lo
	v_sub_f32_e32 v30, v46, v30
	v_add_co_u32 v112, vcc_lo, v24, v112
	v_fma_f32 v43, v28, 2.0, -v39
	v_fma_f32 v42, v42, 2.0, -v38
	;; [unrolled: 1-line block ×4, first 2 shown]
	v_lshlrev_b64_e32 v[134:135], 3, v[56:57]
	s_wait_alu 0xfffd
	v_add_co_ci_u32_e32 v113, vcc_lo, v25, v113, vcc_lo
	v_add_co_u32 v132, vcc_lo, v24, v132
	v_fma_f32 v5, v48, 2.0, -v36
	v_fma_f32 v45, v44, 2.0, -v31
	;; [unrolled: 1-line block ×3, first 2 shown]
	s_wait_alu 0xfffd
	v_add_co_ci_u32_e32 v133, vcc_lo, v25, v133, vcc_lo
	v_fma_f32 v22, v22, 2.0, -v20
	v_fma_f32 v21, v67, 2.0, -v19
	;; [unrolled: 1-line block ×4, first 2 shown]
	s_clause 0xf
	global_store_b64 v[26:27], v[42:43], off
	global_store_b64 v[102:103], v[40:41], off
	;; [unrolled: 1-line block ×16, first 2 shown]
	v_lshlrev_b64_e32 v[0:1], 3, v[114:115]
	v_dual_mov_b32 v6, v57 :: v_dual_add_nc_u32 v5, 0x2a4, v56
	v_add_co_u32 v13, vcc_lo, v24, v134
	v_add_nc_u32_e32 v56, 0x3f6, v56
	s_wait_alu 0xfffd
	v_add_co_ci_u32_e32 v14, vcc_lo, v25, v135, vcc_lo
	v_lshlrev_b64_e32 v[5:6], 3, v[5:6]
	v_add_co_u32 v15, vcc_lo, v24, v0
	s_wait_alu 0xfffd
	v_add_co_ci_u32_e32 v16, vcc_lo, v25, v1, vcc_lo
	v_lshlrev_b64_e32 v[1:2], 3, v[56:57]
	s_delay_alu instid0(VALU_DEP_4) | instskip(SKIP_3) | instid1(VALU_DEP_4)
	v_add_co_u32 v5, vcc_lo, v24, v5
	v_add_nc_u32_e32 v0, 0x138, v90
	s_wait_alu 0xfffd
	v_add_co_ci_u32_e32 v6, vcc_lo, v25, v6, vcc_lo
	v_add_co_u32 v1, vcc_lo, v24, v1
	s_wait_alu 0xfffd
	v_add_co_ci_u32_e32 v2, vcc_lo, v25, v2, vcc_lo
	v_fma_f32 v4, v71, 2.0, -v10
	v_cmp_gt_u32_e32 vcc_lo, 0x152, v0
	s_clause 0x3
	global_store_b64 v[13:14], v[3:4], off
	global_store_b64 v[15:16], v[7:8], off
	;; [unrolled: 1-line block ×4, first 2 shown]
	s_and_b32 exec_lo, exec_lo, vcc_lo
	s_cbranch_execz .LBB0_20
; %bb.19:
	v_mul_i32_i24_e32 v56, 3, v91
	s_delay_alu instid0(VALU_DEP_1) | instskip(SKIP_1) | instid1(VALU_DEP_2)
	v_lshlrev_b64_e32 v[1:2], 3, v[56:57]
	v_add_nc_u32_e32 v56, 0x28a, v90
	v_add_co_u32 v6, vcc_lo, s4, v1
	s_wait_alu 0xfffd
	s_delay_alu instid0(VALU_DEP_3)
	v_add_co_ci_u32_e32 v7, vcc_lo, s5, v2, vcc_lo
	v_mov_b32_e32 v1, v57
	v_lshlrev_b64_e32 v[8:9], 3, v[56:57]
	s_clause 0x1
	global_load_b128 v[2:5], v[6:7], off offset:2688
	global_load_b64 v[6:7], v[6:7], off offset:2704
	v_add_nc_u32_e32 v56, 0x3dc, v90
	v_lshlrev_b64_e32 v[0:1], 3, v[0:1]
	s_delay_alu instid0(VALU_DEP_1) | instskip(SKIP_1) | instid1(VALU_DEP_2)
	v_add_co_u32 v0, vcc_lo, v24, v0
	s_wait_alu 0xfffd
	v_add_co_ci_u32_e32 v1, vcc_lo, v25, v1, vcc_lo
	s_wait_loadcnt 0x1
	v_dual_mul_f32 v12, v97, v3 :: v_dual_mul_f32 v13, v98, v5
	v_mul_f32_e32 v3, v93, v3
	s_wait_loadcnt 0x0
	v_dual_mul_f32 v5, v94, v5 :: v_dual_mul_f32 v14, v99, v7
	s_delay_alu instid0(VALU_DEP_3) | instskip(NEXT) | instid1(VALU_DEP_3)
	v_dual_mul_f32 v7, v95, v7 :: v_dual_fmac_f32 v12, v93, v2
	v_fma_f32 v15, v97, v2, -v3
	s_delay_alu instid0(VALU_DEP_3) | instskip(NEXT) | instid1(VALU_DEP_4)
	v_dual_fmac_f32 v13, v94, v4 :: v_dual_fmac_f32 v14, v95, v6
	v_fma_f32 v2, v98, v4, -v5
	s_delay_alu instid0(VALU_DEP_4) | instskip(SKIP_1) | instid1(VALU_DEP_4)
	v_fma_f32 v3, v99, v6, -v7
	v_lshlrev_b64_e32 v[10:11], 3, v[56:57]
	v_dual_sub_f32 v13, v92, v13 :: v_dual_add_nc_u32 v56, 0x52e, v90
	s_delay_alu instid0(VALU_DEP_4) | instskip(NEXT) | instid1(VALU_DEP_4)
	v_sub_f32_e32 v16, v96, v2
	v_dual_sub_f32 v7, v12, v14 :: v_dual_sub_f32 v6, v15, v3
	v_add_co_u32 v2, vcc_lo, v24, v8
	s_wait_alu 0xfffd
	v_add_co_ci_u32_e32 v3, vcc_lo, v25, v9, vcc_lo
	v_fma_f32 v14, v92, 2.0, -v13
	v_fma_f32 v17, v96, 2.0, -v16
	;; [unrolled: 1-line block ×4, first 2 shown]
	v_lshlrev_b64_e32 v[4:5], 3, v[56:57]
	v_add_co_u32 v10, vcc_lo, v24, v10
	s_delay_alu instid0(VALU_DEP_3) | instskip(SKIP_3) | instid1(VALU_DEP_3)
	v_dual_sub_f32 v8, v14, v8 :: v_dual_sub_f32 v9, v17, v9
	v_dual_add_f32 v6, v13, v6 :: v_dual_sub_f32 v7, v16, v7
	s_wait_alu 0xfffd
	v_add_co_ci_u32_e32 v11, vcc_lo, v25, v11, vcc_lo
	v_fma_f32 v14, v14, 2.0, -v8
	v_fma_f32 v15, v17, 2.0, -v9
	;; [unrolled: 1-line block ×4, first 2 shown]
	v_add_co_u32 v4, vcc_lo, v24, v4
	s_wait_alu 0xfffd
	v_add_co_ci_u32_e32 v5, vcc_lo, v25, v5, vcc_lo
	s_clause 0x3
	global_store_b64 v[0:1], v[14:15], off
	global_store_b64 v[2:3], v[12:13], off
	;; [unrolled: 1-line block ×4, first 2 shown]
.LBB0_20:
	s_nop 0
	s_sendmsg sendmsg(MSG_DEALLOC_VGPRS)
	s_endpgm
	.section	.rodata,"a",@progbits
	.p2align	6, 0x0
	.amdhsa_kernel fft_rtc_back_len1352_factors_2_13_13_4_wgs_52_tpt_52_halfLds_sp_op_CI_CI_unitstride_sbrr_dirReg
		.amdhsa_group_segment_fixed_size 0
		.amdhsa_private_segment_fixed_size 0
		.amdhsa_kernarg_size 104
		.amdhsa_user_sgpr_count 2
		.amdhsa_user_sgpr_dispatch_ptr 0
		.amdhsa_user_sgpr_queue_ptr 0
		.amdhsa_user_sgpr_kernarg_segment_ptr 1
		.amdhsa_user_sgpr_dispatch_id 0
		.amdhsa_user_sgpr_private_segment_size 0
		.amdhsa_wavefront_size32 1
		.amdhsa_uses_dynamic_stack 0
		.amdhsa_enable_private_segment 0
		.amdhsa_system_sgpr_workgroup_id_x 1
		.amdhsa_system_sgpr_workgroup_id_y 0
		.amdhsa_system_sgpr_workgroup_id_z 0
		.amdhsa_system_sgpr_workgroup_info 0
		.amdhsa_system_vgpr_workitem_id 0
		.amdhsa_next_free_vgpr 142
		.amdhsa_next_free_sgpr 39
		.amdhsa_reserve_vcc 1
		.amdhsa_float_round_mode_32 0
		.amdhsa_float_round_mode_16_64 0
		.amdhsa_float_denorm_mode_32 3
		.amdhsa_float_denorm_mode_16_64 3
		.amdhsa_fp16_overflow 0
		.amdhsa_workgroup_processor_mode 1
		.amdhsa_memory_ordered 1
		.amdhsa_forward_progress 0
		.amdhsa_round_robin_scheduling 0
		.amdhsa_exception_fp_ieee_invalid_op 0
		.amdhsa_exception_fp_denorm_src 0
		.amdhsa_exception_fp_ieee_div_zero 0
		.amdhsa_exception_fp_ieee_overflow 0
		.amdhsa_exception_fp_ieee_underflow 0
		.amdhsa_exception_fp_ieee_inexact 0
		.amdhsa_exception_int_div_zero 0
	.end_amdhsa_kernel
	.text
.Lfunc_end0:
	.size	fft_rtc_back_len1352_factors_2_13_13_4_wgs_52_tpt_52_halfLds_sp_op_CI_CI_unitstride_sbrr_dirReg, .Lfunc_end0-fft_rtc_back_len1352_factors_2_13_13_4_wgs_52_tpt_52_halfLds_sp_op_CI_CI_unitstride_sbrr_dirReg
                                        ; -- End function
	.section	.AMDGPU.csdata,"",@progbits
; Kernel info:
; codeLenInByte = 19924
; NumSgprs: 41
; NumVgprs: 142
; ScratchSize: 0
; MemoryBound: 0
; FloatMode: 240
; IeeeMode: 1
; LDSByteSize: 0 bytes/workgroup (compile time only)
; SGPRBlocks: 5
; VGPRBlocks: 17
; NumSGPRsForWavesPerEU: 41
; NumVGPRsForWavesPerEU: 142
; Occupancy: 10
; WaveLimiterHint : 1
; COMPUTE_PGM_RSRC2:SCRATCH_EN: 0
; COMPUTE_PGM_RSRC2:USER_SGPR: 2
; COMPUTE_PGM_RSRC2:TRAP_HANDLER: 0
; COMPUTE_PGM_RSRC2:TGID_X_EN: 1
; COMPUTE_PGM_RSRC2:TGID_Y_EN: 0
; COMPUTE_PGM_RSRC2:TGID_Z_EN: 0
; COMPUTE_PGM_RSRC2:TIDIG_COMP_CNT: 0
	.text
	.p2alignl 7, 3214868480
	.fill 96, 4, 3214868480
	.type	__hip_cuid_ab17348d836000a3,@object ; @__hip_cuid_ab17348d836000a3
	.section	.bss,"aw",@nobits
	.globl	__hip_cuid_ab17348d836000a3
__hip_cuid_ab17348d836000a3:
	.byte	0                               ; 0x0
	.size	__hip_cuid_ab17348d836000a3, 1

	.ident	"AMD clang version 19.0.0git (https://github.com/RadeonOpenCompute/llvm-project roc-6.4.0 25133 c7fe45cf4b819c5991fe208aaa96edf142730f1d)"
	.section	".note.GNU-stack","",@progbits
	.addrsig
	.addrsig_sym __hip_cuid_ab17348d836000a3
	.amdgpu_metadata
---
amdhsa.kernels:
  - .args:
      - .actual_access:  read_only
        .address_space:  global
        .offset:         0
        .size:           8
        .value_kind:     global_buffer
      - .offset:         8
        .size:           8
        .value_kind:     by_value
      - .actual_access:  read_only
        .address_space:  global
        .offset:         16
        .size:           8
        .value_kind:     global_buffer
      - .actual_access:  read_only
        .address_space:  global
        .offset:         24
        .size:           8
        .value_kind:     global_buffer
      - .actual_access:  read_only
        .address_space:  global
        .offset:         32
        .size:           8
        .value_kind:     global_buffer
      - .offset:         40
        .size:           8
        .value_kind:     by_value
      - .actual_access:  read_only
        .address_space:  global
        .offset:         48
        .size:           8
        .value_kind:     global_buffer
      - .actual_access:  read_only
        .address_space:  global
        .offset:         56
        .size:           8
        .value_kind:     global_buffer
      - .offset:         64
        .size:           4
        .value_kind:     by_value
      - .actual_access:  read_only
        .address_space:  global
        .offset:         72
        .size:           8
        .value_kind:     global_buffer
      - .actual_access:  read_only
        .address_space:  global
        .offset:         80
        .size:           8
        .value_kind:     global_buffer
      - .actual_access:  read_only
        .address_space:  global
        .offset:         88
        .size:           8
        .value_kind:     global_buffer
      - .actual_access:  write_only
        .address_space:  global
        .offset:         96
        .size:           8
        .value_kind:     global_buffer
    .group_segment_fixed_size: 0
    .kernarg_segment_align: 8
    .kernarg_segment_size: 104
    .language:       OpenCL C
    .language_version:
      - 2
      - 0
    .max_flat_workgroup_size: 52
    .name:           fft_rtc_back_len1352_factors_2_13_13_4_wgs_52_tpt_52_halfLds_sp_op_CI_CI_unitstride_sbrr_dirReg
    .private_segment_fixed_size: 0
    .sgpr_count:     41
    .sgpr_spill_count: 0
    .symbol:         fft_rtc_back_len1352_factors_2_13_13_4_wgs_52_tpt_52_halfLds_sp_op_CI_CI_unitstride_sbrr_dirReg.kd
    .uniform_work_group_size: 1
    .uses_dynamic_stack: false
    .vgpr_count:     142
    .vgpr_spill_count: 0
    .wavefront_size: 32
    .workgroup_processor_mode: 1
amdhsa.target:   amdgcn-amd-amdhsa--gfx1201
amdhsa.version:
  - 1
  - 2
...

	.end_amdgpu_metadata
